;; amdgpu-corpus repo=ROCm/composable_kernel kind=compiled arch=gfx950 opt=O3
	.amdgcn_target "amdgcn-amd-amdhsa--gfx950"
	.amdhsa_code_object_version 6
	.section	.text._ZN2ckL12flush_icacheEv,"axG",@progbits,_ZN2ckL12flush_icacheEv,comdat
	.globl	_ZN2ckL12flush_icacheEv         ; -- Begin function _ZN2ckL12flush_icacheEv
	.p2align	8
	.type	_ZN2ckL12flush_icacheEv,@function
_ZN2ckL12flush_icacheEv:                ; @_ZN2ckL12flush_icacheEv
; %bb.0:
	;;#ASMSTART
	s_icache_inv 
	s_nop 0 
	s_nop 0 
	;; [unrolled: 1-line block ×16, first 2 shown]
	
	;;#ASMEND
	s_endpgm
	.section	.rodata,"a",@progbits
	.p2align	6, 0x0
	.amdhsa_kernel _ZN2ckL12flush_icacheEv
		.amdhsa_group_segment_fixed_size 0
		.amdhsa_private_segment_fixed_size 0
		.amdhsa_kernarg_size 0
		.amdhsa_user_sgpr_count 0
		.amdhsa_user_sgpr_dispatch_ptr 0
		.amdhsa_user_sgpr_queue_ptr 0
		.amdhsa_user_sgpr_kernarg_segment_ptr 0
		.amdhsa_user_sgpr_dispatch_id 0
		.amdhsa_user_sgpr_kernarg_preload_length 0
		.amdhsa_user_sgpr_kernarg_preload_offset 0
		.amdhsa_user_sgpr_private_segment_size 0
		.amdhsa_uses_dynamic_stack 0
		.amdhsa_enable_private_segment 0
		.amdhsa_system_sgpr_workgroup_id_x 1
		.amdhsa_system_sgpr_workgroup_id_y 0
		.amdhsa_system_sgpr_workgroup_id_z 0
		.amdhsa_system_sgpr_workgroup_info 0
		.amdhsa_system_vgpr_workitem_id 0
		.amdhsa_next_free_vgpr 1
		.amdhsa_next_free_sgpr 0
		.amdhsa_accum_offset 4
		.amdhsa_reserve_vcc 0
		.amdhsa_float_round_mode_32 0
		.amdhsa_float_round_mode_16_64 0
		.amdhsa_float_denorm_mode_32 3
		.amdhsa_float_denorm_mode_16_64 3
		.amdhsa_dx10_clamp 1
		.amdhsa_ieee_mode 1
		.amdhsa_fp16_overflow 0
		.amdhsa_tg_split 0
		.amdhsa_exception_fp_ieee_invalid_op 0
		.amdhsa_exception_fp_denorm_src 0
		.amdhsa_exception_fp_ieee_div_zero 0
		.amdhsa_exception_fp_ieee_overflow 0
		.amdhsa_exception_fp_ieee_underflow 0
		.amdhsa_exception_fp_ieee_inexact 0
		.amdhsa_exception_int_div_zero 0
	.end_amdhsa_kernel
	.section	.text._ZN2ckL12flush_icacheEv,"axG",@progbits,_ZN2ckL12flush_icacheEv,comdat
.Lfunc_end0:
	.size	_ZN2ckL12flush_icacheEv, .Lfunc_end0-_ZN2ckL12flush_icacheEv
                                        ; -- End function
	.set _ZN2ckL12flush_icacheEv.num_vgpr, 0
	.set _ZN2ckL12flush_icacheEv.num_agpr, 0
	.set _ZN2ckL12flush_icacheEv.numbered_sgpr, 0
	.set _ZN2ckL12flush_icacheEv.num_named_barrier, 0
	.set _ZN2ckL12flush_icacheEv.private_seg_size, 0
	.set _ZN2ckL12flush_icacheEv.uses_vcc, 0
	.set _ZN2ckL12flush_icacheEv.uses_flat_scratch, 0
	.set _ZN2ckL12flush_icacheEv.has_dyn_sized_stack, 0
	.set _ZN2ckL12flush_icacheEv.has_recursion, 0
	.set _ZN2ckL12flush_icacheEv.has_indirect_call, 0
	.section	.AMDGPU.csdata,"",@progbits
; Kernel info:
; codeLenInByte = 276
; TotalNumSgprs: 6
; NumVgprs: 0
; NumAgprs: 0
; TotalNumVgprs: 0
; ScratchSize: 0
; MemoryBound: 0
; FloatMode: 240
; IeeeMode: 1
; LDSByteSize: 0 bytes/workgroup (compile time only)
; SGPRBlocks: 0
; VGPRBlocks: 0
; NumSGPRsForWavesPerEU: 6
; NumVGPRsForWavesPerEU: 1
; AccumOffset: 4
; Occupancy: 8
; WaveLimiterHint : 0
; COMPUTE_PGM_RSRC2:SCRATCH_EN: 0
; COMPUTE_PGM_RSRC2:USER_SGPR: 0
; COMPUTE_PGM_RSRC2:TRAP_HANDLER: 0
; COMPUTE_PGM_RSRC2:TGID_X_EN: 1
; COMPUTE_PGM_RSRC2:TGID_Y_EN: 0
; COMPUTE_PGM_RSRC2:TGID_Z_EN: 0
; COMPUTE_PGM_RSRC2:TIDIG_COMP_CNT: 0
; COMPUTE_PGM_RSRC3_GFX90A:ACCUM_OFFSET: 0
; COMPUTE_PGM_RSRC3_GFX90A:TG_SPLIT: 0
	.section	.text._ZN2ck27kernel_gemm_xdl_cshuffle_v3INS_28GridwiseGemm_xdl_cshuffle_v3INS_13tensor_layout4gemm8RowMajorENS3_11ColumnMajorES4_DF16bDF16bfDF16bDF16bNS_16tensor_operation12element_wise11PassThroughES8_S8_LNS6_6device18GemmSpecializationE0ELi256ELi128ELi128ELi64ELi8ELi8ELi16ELi16ELi4ELi4ENS_8SequenceIJLi8ELi32ELi1EEEENSB_IJLi1ELi0ELi2EEEESD_Li2ELi8ELi8ELb0ELi0ESC_SD_SD_Li2ELi8ELi8ELb0ELi0ELi1ELi2ENSB_IJLi1ELi32ELi1ELi8EEEELi8ELNS_26BlockGemmPipelineSchedulerE0ELNS_24BlockGemmPipelineVersionE2EDF16bDF16bLb0ELb0ELb0ELi0ELb0EEELb1ELNS_25InMemoryDataOperationEnumE1ELi2ELNS_10TailNumberE10EEEvNT_8ArgumentE,"axG",@progbits,_ZN2ck27kernel_gemm_xdl_cshuffle_v3INS_28GridwiseGemm_xdl_cshuffle_v3INS_13tensor_layout4gemm8RowMajorENS3_11ColumnMajorES4_DF16bDF16bfDF16bDF16bNS_16tensor_operation12element_wise11PassThroughES8_S8_LNS6_6device18GemmSpecializationE0ELi256ELi128ELi128ELi64ELi8ELi8ELi16ELi16ELi4ELi4ENS_8SequenceIJLi8ELi32ELi1EEEENSB_IJLi1ELi0ELi2EEEESD_Li2ELi8ELi8ELb0ELi0ESC_SD_SD_Li2ELi8ELi8ELb0ELi0ELi1ELi2ENSB_IJLi1ELi32ELi1ELi8EEEELi8ELNS_26BlockGemmPipelineSchedulerE0ELNS_24BlockGemmPipelineVersionE2EDF16bDF16bLb0ELb0ELb0ELi0ELb0EEELb1ELNS_25InMemoryDataOperationEnumE1ELi2ELNS_10TailNumberE10EEEvNT_8ArgumentE,comdat
	.protected	_ZN2ck27kernel_gemm_xdl_cshuffle_v3INS_28GridwiseGemm_xdl_cshuffle_v3INS_13tensor_layout4gemm8RowMajorENS3_11ColumnMajorES4_DF16bDF16bfDF16bDF16bNS_16tensor_operation12element_wise11PassThroughES8_S8_LNS6_6device18GemmSpecializationE0ELi256ELi128ELi128ELi64ELi8ELi8ELi16ELi16ELi4ELi4ENS_8SequenceIJLi8ELi32ELi1EEEENSB_IJLi1ELi0ELi2EEEESD_Li2ELi8ELi8ELb0ELi0ESC_SD_SD_Li2ELi8ELi8ELb0ELi0ELi1ELi2ENSB_IJLi1ELi32ELi1ELi8EEEELi8ELNS_26BlockGemmPipelineSchedulerE0ELNS_24BlockGemmPipelineVersionE2EDF16bDF16bLb0ELb0ELb0ELi0ELb0EEELb1ELNS_25InMemoryDataOperationEnumE1ELi2ELNS_10TailNumberE10EEEvNT_8ArgumentE ; -- Begin function _ZN2ck27kernel_gemm_xdl_cshuffle_v3INS_28GridwiseGemm_xdl_cshuffle_v3INS_13tensor_layout4gemm8RowMajorENS3_11ColumnMajorES4_DF16bDF16bfDF16bDF16bNS_16tensor_operation12element_wise11PassThroughES8_S8_LNS6_6device18GemmSpecializationE0ELi256ELi128ELi128ELi64ELi8ELi8ELi16ELi16ELi4ELi4ENS_8SequenceIJLi8ELi32ELi1EEEENSB_IJLi1ELi0ELi2EEEESD_Li2ELi8ELi8ELb0ELi0ESC_SD_SD_Li2ELi8ELi8ELb0ELi0ELi1ELi2ENSB_IJLi1ELi32ELi1ELi8EEEELi8ELNS_26BlockGemmPipelineSchedulerE0ELNS_24BlockGemmPipelineVersionE2EDF16bDF16bLb0ELb0ELb0ELi0ELb0EEELb1ELNS_25InMemoryDataOperationEnumE1ELi2ELNS_10TailNumberE10EEEvNT_8ArgumentE
	.globl	_ZN2ck27kernel_gemm_xdl_cshuffle_v3INS_28GridwiseGemm_xdl_cshuffle_v3INS_13tensor_layout4gemm8RowMajorENS3_11ColumnMajorES4_DF16bDF16bfDF16bDF16bNS_16tensor_operation12element_wise11PassThroughES8_S8_LNS6_6device18GemmSpecializationE0ELi256ELi128ELi128ELi64ELi8ELi8ELi16ELi16ELi4ELi4ENS_8SequenceIJLi8ELi32ELi1EEEENSB_IJLi1ELi0ELi2EEEESD_Li2ELi8ELi8ELb0ELi0ESC_SD_SD_Li2ELi8ELi8ELb0ELi0ELi1ELi2ENSB_IJLi1ELi32ELi1ELi8EEEELi8ELNS_26BlockGemmPipelineSchedulerE0ELNS_24BlockGemmPipelineVersionE2EDF16bDF16bLb0ELb0ELb0ELi0ELb0EEELb1ELNS_25InMemoryDataOperationEnumE1ELi2ELNS_10TailNumberE10EEEvNT_8ArgumentE
	.p2align	8
	.type	_ZN2ck27kernel_gemm_xdl_cshuffle_v3INS_28GridwiseGemm_xdl_cshuffle_v3INS_13tensor_layout4gemm8RowMajorENS3_11ColumnMajorES4_DF16bDF16bfDF16bDF16bNS_16tensor_operation12element_wise11PassThroughES8_S8_LNS6_6device18GemmSpecializationE0ELi256ELi128ELi128ELi64ELi8ELi8ELi16ELi16ELi4ELi4ENS_8SequenceIJLi8ELi32ELi1EEEENSB_IJLi1ELi0ELi2EEEESD_Li2ELi8ELi8ELb0ELi0ESC_SD_SD_Li2ELi8ELi8ELb0ELi0ELi1ELi2ENSB_IJLi1ELi32ELi1ELi8EEEELi8ELNS_26BlockGemmPipelineSchedulerE0ELNS_24BlockGemmPipelineVersionE2EDF16bDF16bLb0ELb0ELb0ELi0ELb0EEELb1ELNS_25InMemoryDataOperationEnumE1ELi2ELNS_10TailNumberE10EEEvNT_8ArgumentE,@function
_ZN2ck27kernel_gemm_xdl_cshuffle_v3INS_28GridwiseGemm_xdl_cshuffle_v3INS_13tensor_layout4gemm8RowMajorENS3_11ColumnMajorES4_DF16bDF16bfDF16bDF16bNS_16tensor_operation12element_wise11PassThroughES8_S8_LNS6_6device18GemmSpecializationE0ELi256ELi128ELi128ELi64ELi8ELi8ELi16ELi16ELi4ELi4ENS_8SequenceIJLi8ELi32ELi1EEEENSB_IJLi1ELi0ELi2EEEESD_Li2ELi8ELi8ELb0ELi0ESC_SD_SD_Li2ELi8ELi8ELb0ELi0ELi1ELi2ENSB_IJLi1ELi32ELi1ELi8EEEELi8ELNS_26BlockGemmPipelineSchedulerE0ELNS_24BlockGemmPipelineVersionE2EDF16bDF16bLb0ELb0ELb0ELi0ELb0EEELb1ELNS_25InMemoryDataOperationEnumE1ELi2ELNS_10TailNumberE10EEEvNT_8ArgumentE: ; @_ZN2ck27kernel_gemm_xdl_cshuffle_v3INS_28GridwiseGemm_xdl_cshuffle_v3INS_13tensor_layout4gemm8RowMajorENS3_11ColumnMajorES4_DF16bDF16bfDF16bDF16bNS_16tensor_operation12element_wise11PassThroughES8_S8_LNS6_6device18GemmSpecializationE0ELi256ELi128ELi128ELi64ELi8ELi8ELi16ELi16ELi4ELi4ENS_8SequenceIJLi8ELi32ELi1EEEENSB_IJLi1ELi0ELi2EEEESD_Li2ELi8ELi8ELb0ELi0ESC_SD_SD_Li2ELi8ELi8ELb0ELi0ELi1ELi2ENSB_IJLi1ELi32ELi1ELi8EEEELi8ELNS_26BlockGemmPipelineSchedulerE0ELNS_24BlockGemmPipelineVersionE2EDF16bDF16bLb0ELb0ELb0ELi0ELb0EEELb1ELNS_25InMemoryDataOperationEnumE1ELi2ELNS_10TailNumberE10EEEvNT_8ArgumentE
; %bb.0:
	s_load_dwordx8 s[4:11], s[0:1], 0x10
	s_load_dwordx2 s[16:17], s[0:1], 0x60
	s_waitcnt lgkmcnt(0)
	s_load_dword s11, s[0:1], 0x68
	s_load_dword s21, s[0:1], 0x3c
	s_load_dwordx4 s[12:15], s[0:1], 0x50
	s_cmp_gt_i32 s10, 1
	s_cselect_b64 s[18:19], -1, 0
	s_waitcnt lgkmcnt(0)
	s_bitcmp1_b32 s11, 0
	s_cselect_b64 s[22:23], -1, 0
	s_and_b64 s[18:19], s[18:19], s[22:23]
	s_andn2_b64 vcc, exec, s[18:19]
	s_mov_b64 s[18:19], 0
	s_cbranch_vccnz .LBB1_2
; %bb.1:
	s_mul_i32 s11, s4, s3
	s_mul_i32 s18, s11, s5
	s_ashr_i32 s19, s18, 31
.LBB1_2:
	s_load_dword s22, s[0:1], 0x34
	s_add_i32 s0, s4, -1
	s_mov_b32 s20, 0
	s_cmpk_lt_u32 s0, 0x80
	s_movk_i32 s11, 0x80
	s_cbranch_scc1 .LBB1_10
; %bb.3:
	s_add_i32 s0, s5, -1
	s_cmpk_lt_u32 s0, 0x80
	s_mov_b32 s0, 0
	s_cbranch_scc1 .LBB1_9
; %bb.4:
	s_add_i32 s0, s4, 0x7f
	s_ashr_i32 s1, s0, 31
	s_lshr_b32 s1, s1, 25
	s_add_i32 s0, s0, s1
	s_ashr_i32 s23, s0, 7
	s_add_i32 s0, s5, 0x7f
	s_ashr_i32 s1, s0, 31
	s_lshr_b32 s1, s1, 25
	s_add_i32 s0, s0, s1
	s_ashr_i32 s20, s0, 7
	s_mul_i32 s0, s20, s23
	s_add_i32 s1, s0, 7
	s_ashr_i32 s24, s1, 31
	s_lshr_b32 s24, s24, 29
	s_add_i32 s1, s1, s24
	s_ashr_i32 s24, s1, 3
	s_and_b32 s1, s1, -8
	s_sub_i32 s25, s0, s1
	s_ashr_i32 s0, s2, 31
	s_lshr_b32 s0, s0, 29
	s_add_i32 s27, s2, s0
	s_and_b32 s0, s27, -8
	s_add_i32 s25, s25, 8
	s_sub_i32 s26, s2, s0
	s_cmp_gt_i32 s26, s25
	s_cbranch_scc1 .LBB1_6
; %bb.5:
	s_mul_i32 s2, s24, s26
	s_ashr_i32 s0, s27, 3
	s_cbranch_execz .LBB1_7
	s_branch .LBB1_8
.LBB1_6:
                                        ; implicit-def: $sgpr2
	s_ashr_i32 s0, s27, 3
.LBB1_7:
	s_add_i32 s1, s24, -1
	s_mul_i32 s1, s1, s26
	s_add_i32 s2, s25, s1
.LBB1_8:
	s_abs_i32 s1, s20
	v_cvt_f32_u32_e32 v1, s1
	s_sub_i32 s25, 0, s1
	s_add_i32 s0, s2, s0
	s_abs_i32 s24, s0
	v_rcp_iflag_f32_e32 v1, v1
	s_xor_b32 s2, s0, s20
	s_ashr_i32 s2, s2, 31
	v_mul_f32_e32 v1, 0x4f7ffffe, v1
	v_cvt_u32_f32_e32 v1, v1
	s_nop 0
	v_readfirstlane_b32 s26, v1
	s_mul_i32 s25, s25, s26
	s_mul_hi_u32 s25, s26, s25
	s_add_i32 s26, s26, s25
	s_mul_hi_u32 s25, s24, s26
	s_mul_i32 s26, s25, s1
	s_sub_i32 s24, s24, s26
	s_add_i32 s27, s25, 1
	s_sub_i32 s26, s24, s1
	s_cmp_ge_u32 s24, s1
	s_cselect_b32 s25, s27, s25
	s_cselect_b32 s24, s26, s24
	s_add_i32 s26, s25, 1
	s_cmp_ge_u32 s24, s1
	s_cselect_b32 s1, s26, s25
	s_xor_b32 s1, s1, s2
	s_lshr_b32 s24, s23, 30
	s_sub_i32 s1, s1, s2
	s_add_i32 s24, s23, s24
	s_mul_i32 s2, s1, s20
	s_sub_i32 s0, s0, s2
	s_and_b32 s2, s24, -4
	s_sub_i32 s23, s23, s2
	s_cmp_ge_i32 s1, s2
	s_cselect_b32 s2, s23, 4
	s_abs_i32 s24, s2
	v_cvt_f32_u32_e32 v1, s24
	s_ashr_i32 s23, s1, 31
	s_lshr_b32 s23, s23, 30
	s_add_i32 s23, s1, s23
	v_rcp_iflag_f32_e32 v1, v1
	s_and_b32 s23, s23, -4
	s_sub_i32 s23, s1, s23
	s_sub_i32 s26, 0, s24
	v_mul_f32_e32 v1, 0x4f7ffffe, v1
	v_cvt_u32_f32_e32 v1, v1
	s_mul_i32 s20, s23, s20
	s_add_i32 s20, s20, s0
	s_abs_i32 s25, s20
	v_readfirstlane_b32 s27, v1
	s_mul_i32 s26, s26, s27
	s_mul_hi_u32 s26, s27, s26
	s_add_i32 s27, s27, s26
	s_mul_hi_u32 s26, s25, s27
	s_mul_i32 s27, s26, s24
	s_xor_b32 s0, s20, s2
	s_sub_i32 s25, s25, s27
	s_ashr_i32 s0, s0, 31
	s_add_i32 s27, s26, 1
	s_sub_i32 s28, s25, s24
	s_cmp_ge_u32 s25, s24
	s_cselect_b32 s26, s27, s26
	s_cselect_b32 s25, s28, s25
	s_add_i32 s27, s26, 1
	s_cmp_ge_u32 s25, s24
	s_cselect_b32 s24, s27, s26
	s_xor_b32 s24, s24, s0
	s_sub_i32 s0, s24, s0
	s_mul_i32 s2, s0, s2
	s_sub_i32 s2, s20, s2
	s_add_i32 s2, s2, s1
	s_sub_i32 s2, s2, s23
.LBB1_9:
	s_mov_b32 s20, s2
	s_mov_b32 s2, s0
.LBB1_10:
	s_waitcnt lgkmcnt(0)
	s_mul_i32 s0, s22, s3
	s_ashr_i32 s1, s0, 31
	s_lshl_b64 s[24:25], s[0:1], 1
	s_add_u32 s0, s12, s24
	s_addc_u32 s1, s13, s25
	s_add_u32 s12, s14, s24
	s_addc_u32 s13, s15, s25
	s_add_i32 s10, s10, -1
	s_mul_i32 s23, s10, s22
	s_add_i32 s14, s4, 0x7fffffff
	s_add_i32 s15, s5, 0x7fffffff
	s_sub_i32 s6, s6, s23
	s_cmp_lt_u32 s3, s10
	v_lshrrev_b32_e32 v99, 1, v0
	s_cselect_b32 s6, s22, s6
	s_lshl_b32 s10, s2, 7
	v_and_b32_e32 v1, 0x7c, v99
	v_and_b32_e32 v98, 7, v0
	v_lshl_or_b32 v100, s20, 7, v1
	v_or_b32_e32 v103, s10, v1
	v_lshrrev_b32_e32 v164, 2, v0
	s_ashr_i32 s2, s21, 31
	v_lshlrev_b32_e32 v2, 3, v98
	v_mul_lo_u32 v101, v100, s7
	v_bitop3_b32 v102, v99, v98, 4 bitop3:0x6c
	v_lshlrev_b32_e32 v4, 6, v1
	v_mul_lo_u32 v104, v103, s8
	v_and_b32_e32 v1, 15, v0
	v_lshrrev_b32_e32 v163, 3, v0
	v_and_b32_e32 v162, 16, v164
	s_lshr_b32 s2, s2, 29
	s_mul_i32 s14, s14, s7
	s_mul_i32 s15, s15, s8
	v_add_u32_e32 v3, v101, v2
	v_and_b32_e32 v66, 4, v99
	v_lshl_or_b32 v67, v102, 3, v4
	v_add_u32_e32 v18, v104, v2
	v_and_or_b32 v68, v163, 16, v1
	v_and_b32_e32 v105, 6, v163
	v_bitop3_b32 v106, v163, v98, 6 bitop3:0x6c
	v_or_b32_e32 v70, v162, v1
	s_add_i32 s21, s21, s2
	s_ashr_i32 s21, s21, 3
	; sched_barrier mask(0x00000000)
	s_add_i32 s2, s6, s14
	s_lshl_b32 s2, s2, 1
	s_and_b32 s1, s1, 0xffff
	s_mov_b32 s3, 0x20000
	v_lshlrev_b32_e32 v10, 1, v3
	v_add_u32_e32 v11, s7, v3
	v_lshlrev_b32_e32 v12, 1, v11
	buffer_load_dwordx4 v[2:5], v10, s[0:3], 0 offen
	buffer_load_dwordx4 v[6:9], v12, s[0:3], 0 offen
	v_add_u32_e32 v10, s7, v11
	v_add_u32_e32 v22, s7, v10
	s_add_i32 s6, s6, s15
	v_lshlrev_b32_e32 v19, 1, v10
	v_lshlrev_b32_e32 v20, 1, v22
	s_lshl_b32 s14, s6, 1
	s_and_b32 s13, s13, 0xffff
	s_mov_b32 s15, s3
	v_lshlrev_b32_e32 v23, 1, v18
	v_add_u32_e32 v24, s8, v18
	buffer_load_dwordx4 v[10:13], v19, s[0:3], 0 offen
	buffer_load_dwordx4 v[14:17], v20, s[0:3], 0 offen
	v_lshlrev_b32_e32 v25, 1, v24
	buffer_load_dwordx4 v[18:21], v23, s[12:15], 0 offen
	buffer_load_dwordx4 v[26:29], v25, s[12:15], 0 offen
	v_add_u32_e32 v23, s8, v24
	v_lshlrev_b32_e32 v24, 1, v23
	v_add_u32_e32 v23, s8, v23
	v_lshlrev_b32_e32 v25, 1, v23
	buffer_load_dwordx4 v[46:49], v24, s[12:15], 0 offen
	buffer_load_dwordx4 v[62:65], v25, s[12:15], 0 offen
	s_mul_i32 s6, s7, -3
	v_add3_u32 v22, s6, 64, v22
	s_mul_i32 s6, s8, -3
	v_lshlrev_b32_e32 v30, 1, v22
	v_add_u32_e32 v31, s7, v22
	v_add3_u32 v38, s6, 64, v23
	v_lshlrev_b32_e32 v32, 1, v31
	buffer_load_dwordx4 v[58:61], v30, s[0:3], 0 offen
	buffer_load_dwordx4 v[22:25], v32, s[0:3], 0 offen
	v_add_u32_e32 v30, s7, v31
	v_lshlrev_b32_e32 v39, 1, v30
	v_add_lshl_u32 v40, v30, s7, 1
	v_lshlrev_b32_e32 v50, 1, v38
	v_add_u32_e32 v51, s8, v38
	buffer_load_dwordx4 v[34:37], v39, s[0:3], 0 offen
	buffer_load_dwordx4 v[30:33], v40, s[0:3], 0 offen
	v_lshlrev_b32_e32 v52, 1, v51
	buffer_load_dwordx4 v[42:45], v50, s[12:15], 0 offen
	buffer_load_dwordx4 v[38:41], v52, s[12:15], 0 offen
	v_add_u32_e32 v50, s8, v51
	v_lshlrev_b32_e32 v69, 1, v50
	v_add_lshl_u32 v71, v50, s8, 1
	buffer_load_dwordx4 v[54:57], v69, s[12:15], 0 offen
	buffer_load_dwordx4 v[50:53], v71, s[12:15], 0 offen
	v_bitop3_b32 v71, v66, v98, 1 bitop3:0x36
	v_bitop3_b32 v107, v66, v98, 2 bitop3:0x36
	v_lshlrev_b32_e32 v69, 1, v67
	v_bitop3_b32 v108, v66, v98, 3 bitop3:0x36
	v_sub_u32_e32 v66, v71, v102
	v_sub_u32_e32 v71, v107, v71
	;; [unrolled: 1-line block ×3, first 2 shown]
	v_lshlrev_b32_e32 v165, 3, v66
	v_lshl_add_u32 v66, v66, 4, v69
	v_lshlrev_b32_e32 v109, 3, v71
	v_lshlrev_b32_e32 v71, 4, v71
	;; [unrolled: 1-line block ×4, first 2 shown]
	v_add3_u32 v71, v66, s11, v71
	v_add3_u32 v73, v71, s11, v73
	v_lshlrev_b32_e32 v72, 4, v106
	v_add_u32_e32 v166, 64, v109
	v_lshl_or_b32 v167, v68, 7, v72
	v_lshl_or_b32 v168, v70, 7, v72
	v_add_u32_e32 v110, v165, v166
	v_add3_u32 v111, v110, v67, v74
	s_movk_i32 s6, 0xffc0
	s_waitcnt vmcnt(15)
	ds_write_b128 v69, v[2:5]
	s_waitcnt vmcnt(14)
	ds_write_b128 v66, v[6:9] offset:128
	s_waitcnt vmcnt(13)
	ds_write_b128 v71, v[10:13] offset:128
	;; [unrolled: 2-line block ×7, first 2 shown]
	v_bitop3_b32 v2, v105, v98, 1 bitop3:0x36
	v_sub_u32_e32 v2, v2, v106
	v_lshlrev_b32_e32 v6, 4, v2
	v_add_u32_e32 v169, v167, v6
	v_add_u32_e32 v170, v168, v6
	s_waitcnt lgkmcnt(0)
	s_barrier
	ds_read_b128 v[94:97], v167
	ds_read_b128 v[90:93], v167 offset:4096
	ds_read_b128 v[86:89], v167 offset:8192
	;; [unrolled: 1-line block ×7, first 2 shown]
	ds_read_b128 v[62:65], v169
	ds_read_b128 v[46:49], v169 offset:4096
	ds_read_b128 v[26:29], v169 offset:8192
	ds_read_b128 v[2:5], v169 offset:12288
	ds_read_b128 v[18:21], v170 offset:16384
	ds_read_b128 v[14:17], v170 offset:20480
	ds_read_b128 v[6:9], v170 offset:24576
	ds_read_b128 v[10:13], v170 offset:28672
	v_sub_u32_e32 v105, v102, v108
	v_lshlrev_b32_e32 v105, 3, v105
	v_add3_u32 v171, v111, v105, s6
	; sched_barrier mask(0x00000000)
	v_or_b32_e32 v99, 3, v99
	v_bitop3_b32 v99, v99, 7, v0 bitop3:0x48
	v_sub_u32_e32 v105, v99, v107
	v_lshlrev_b32_e32 v105, 3, v105
	v_add_u32_e32 v172, 64, v105
	v_sub_u32_e32 v99, v102, v99
	s_max_i32 s6, s21, 2
	v_lshlrev_b32_e32 v99, 3, v99
	v_add_u32_e32 v102, v110, v172
	s_movk_i32 s21, 0xff80
	v_lshlrev_b32_e32 v174, 4, v98
	v_or_b32_e32 v98, 3, v103
	v_add3_u32 v173, v102, v99, s21
	v_mul_lo_u32 v98, s8, v98
	v_mov_b32_e32 v99, 0x100
	v_lshl_add_u32 v175, v98, 1, v99
	v_or_b32_e32 v98, 2, v103
	v_mul_lo_u32 v98, s8, v98
	v_lshl_add_u32 v176, v98, 1, v99
	v_add_u32_e32 v98, s8, v104
	v_lshl_add_u32 v177, v98, 1, v99
	v_or_b32_e32 v98, 3, v100
	v_mul_lo_u32 v98, s7, v98
	v_lshl_add_u32 v179, v98, 1, v99
	v_or_b32_e32 v98, 2, v100
	v_mul_lo_u32 v98, s7, v98
	v_lshl_add_u32 v180, v98, 1, v99
	v_add_u32_e32 v98, s7, v101
	v_lshl_add_u32 v181, v98, 1, v99
	v_mov_b32_e32 v98, 0
	v_lshl_add_u32 v178, v104, 1, v99
	v_lshl_add_u32 v182, v101, 1, v99
	s_add_i32 s6, s6, -1
	v_lshlrev_b32_e32 v183, 1, v109
	v_lshlrev_b32_e32 v184, 1, v105
	v_mov_b32_e32 v99, v98
	v_mov_b32_e32 v100, v98
	;; [unrolled: 1-line block ×63, first 2 shown]
.LBB1_11:                               ; =>This Inner Loop Header: Depth=1
	v_lshlrev_b32_e32 v185, 1, v171
	s_waitcnt lgkmcnt(0)
	s_barrier
	s_waitcnt vmcnt(7)
	ds_write_b128 v185, v[58:61]
	v_add_u32_e32 v58, v174, v182
	v_lshl_add_u32 v186, v165, 1, v185
	v_mfma_f32_16x16x32_bf16 v[158:161], v[94:97], v[82:85], v[158:161]
	buffer_load_dwordx4 v[58:61], v58, s[0:3], 0 offen
	v_add_u32_e32 v171, v171, v173
	; sched_group_barrier mask(0x00000200) size(1) SyncID(0)
	; sched_group_barrier mask(0x00000008) size(1) SyncID(0)
	;; [unrolled: 1-line block ×3, first 2 shown]
	v_mfma_f32_16x16x32_bf16 v[154:157], v[94:97], v[78:81], v[154:157]
	s_waitcnt vmcnt(7)
	ds_write_b128 v186, v[22:25] offset:128
	v_add_u32_e32 v22, v174, v181
	; sched_group_barrier mask(0x00000008) size(1) SyncID(0)
	; sched_group_barrier mask(0x00000200) size(1) SyncID(0)
	v_mfma_f32_16x16x32_bf16 v[150:153], v[94:97], v[74:77], v[150:153]
	buffer_load_dwordx4 v[22:25], v22, s[0:3], 0 offen
	; sched_group_barrier mask(0x00000008) size(1) SyncID(0)
	; sched_group_barrier mask(0x00000020) size(1) SyncID(0)
	v_mfma_f32_16x16x32_bf16 v[146:149], v[94:97], v[70:73], v[146:149]
	v_add3_u32 v94, v186, s11, v183
	s_waitcnt vmcnt(7)
	ds_write_b128 v94, v[34:37] offset:128
	v_add_u32_e32 v34, v174, v180
	v_add3_u32 v94, v94, s11, v184
	v_mfma_f32_16x16x32_bf16 v[142:145], v[90:93], v[82:85], v[142:145]
	buffer_load_dwordx4 v[34:37], v34, s[0:3], 0 offen
	; sched_group_barrier mask(0x00000008) size(1) SyncID(0)
	; sched_group_barrier mask(0x00000200) size(1) SyncID(0)
	;; [unrolled: 1-line block ×4, first 2 shown]
	v_mfma_f32_16x16x32_bf16 v[138:141], v[90:93], v[78:81], v[138:141]
	s_waitcnt vmcnt(7)
	ds_write_b128 v94, v[30:33] offset:128
	v_add_u32_e32 v30, v174, v179
	; sched_group_barrier mask(0x00000008) size(1) SyncID(0)
	; sched_group_barrier mask(0x00000200) size(1) SyncID(0)
	v_mfma_f32_16x16x32_bf16 v[134:137], v[90:93], v[74:77], v[134:137]
	buffer_load_dwordx4 v[30:33], v30, s[0:3], 0 offen
	; sched_group_barrier mask(0x00000008) size(1) SyncID(0)
	; sched_group_barrier mask(0x00000020) size(1) SyncID(0)
	v_mfma_f32_16x16x32_bf16 v[130:133], v[90:93], v[70:73], v[130:133]
	s_waitcnt vmcnt(7)
	ds_write_b128 v185, v[42:45] offset:16384
	v_add_u32_e32 v42, v174, v178
	; sched_group_barrier mask(0x00000008) size(1) SyncID(0)
	; sched_group_barrier mask(0x00000200) size(1) SyncID(0)
	v_mfma_f32_16x16x32_bf16 v[126:129], v[86:89], v[82:85], v[126:129]
	buffer_load_dwordx4 v[42:45], v42, s[12:15], 0 offen
	; sched_group_barrier mask(0x00000008) size(1) SyncID(0)
	; sched_group_barrier mask(0x00000020) size(1) SyncID(0)
	;; [unrolled: 10-line block ×3, first 2 shown]
	v_mfma_f32_16x16x32_bf16 v[114:117], v[86:89], v[70:73], v[114:117]
	v_lshl_add_u32 v86, v166, 1, v186
	s_waitcnt vmcnt(7)
	ds_write_b128 v86, v[54:57] offset:16512
	v_add_u32_e32 v54, v174, v176
	v_mfma_f32_16x16x32_bf16 v[110:113], v[66:69], v[82:85], v[110:113]
	buffer_load_dwordx4 v[54:57], v54, s[12:15], 0 offen
	; sched_group_barrier mask(0x00000008) size(1) SyncID(0)
	; sched_group_barrier mask(0x00000200) size(1) SyncID(0)
	;; [unrolled: 1-line block ×4, first 2 shown]
	v_mfma_f32_16x16x32_bf16 v[106:109], v[66:69], v[78:81], v[106:109]
	v_add_u32_e32 v78, v174, v175
	v_lshl_add_u32 v79, v172, 1, v86
	s_waitcnt vmcnt(7)
	ds_write_b128 v79, v[50:53] offset:16512
	v_mfma_f32_16x16x32_bf16 v[102:105], v[66:69], v[74:77], v[102:105]
	buffer_load_dwordx4 v[50:53], v78, s[12:15], 0 offen
	s_waitcnt lgkmcnt(0)
	s_barrier
	v_mfma_f32_16x16x32_bf16 v[98:101], v[66:69], v[70:73], v[98:101]
	ds_read_b128 v[94:97], v167
	; sched_group_barrier mask(0x00000008) size(1) SyncID(0)
	; sched_group_barrier mask(0x00000200) size(1) SyncID(0)
	;; [unrolled: 1-line block ×6, first 2 shown]
	v_mfma_f32_16x16x32_bf16 v[158:161], v[62:65], v[18:21], v[158:161]
	ds_read_b128 v[90:93], v167 offset:4096
	; sched_group_barrier mask(0x00000008) size(1) SyncID(0)
	; sched_group_barrier mask(0x00000100) size(1) SyncID(0)
	v_mfma_f32_16x16x32_bf16 v[154:157], v[62:65], v[14:17], v[154:157]
	ds_read_b128 v[86:89], v167 offset:8192
	; sched_group_barrier mask(0x00000008) size(1) SyncID(0)
	; sched_group_barrier mask(0x00000100) size(1) SyncID(0)
	;; [unrolled: 4-line block ×7, first 2 shown]
	v_mfma_f32_16x16x32_bf16 v[130:133], v[46:49], v[10:13], v[130:133]
	ds_read_b128 v[62:65], v169
	; sched_group_barrier mask(0x00000008) size(1) SyncID(0)
	; sched_group_barrier mask(0x00000100) size(1) SyncID(0)
	v_mfma_f32_16x16x32_bf16 v[126:129], v[26:29], v[18:21], v[126:129]
	ds_read_b128 v[46:49], v169 offset:4096
	; sched_group_barrier mask(0x00000008) size(1) SyncID(0)
	; sched_group_barrier mask(0x00000100) size(1) SyncID(0)
	v_mfma_f32_16x16x32_bf16 v[118:121], v[26:29], v[14:17], v[118:121]
	; sched_group_barrier mask(0x00000008) size(1) SyncID(0)
	v_mfma_f32_16x16x32_bf16 v[98:101], v[2:5], v[10:13], v[98:101]
	v_mfma_f32_16x16x32_bf16 v[102:105], v[2:5], v[6:9], v[102:105]
	;; [unrolled: 1-line block ×4, first 2 shown]
	ds_read_b128 v[2:5], v169 offset:12288
	; sched_group_barrier mask(0x00000100) size(1) SyncID(0)
	v_mfma_f32_16x16x32_bf16 v[114:117], v[26:29], v[10:13], v[114:117]
	ds_read_b128 v[14:17], v170 offset:20480
	ds_read_b128 v[10:13], v170 offset:28672
	; sched_group_barrier mask(0x00000008) size(1) SyncID(0)
	; sched_group_barrier mask(0x00000100) size(1) SyncID(0)
	;; [unrolled: 1-line block ×4, first 2 shown]
	v_mfma_f32_16x16x32_bf16 v[122:125], v[26:29], v[6:9], v[122:125]
	ds_read_b128 v[26:29], v169 offset:8192
	ds_read_b128 v[6:9], v170 offset:24576
	;; [unrolled: 1-line block ×3, first 2 shown]
	; sched_group_barrier mask(0x00000008) size(1) SyncID(0)
	; sched_group_barrier mask(0x00000100) size(1) SyncID(0)
	;; [unrolled: 1-line block ×7, first 2 shown]
	; sched_barrier mask(0x00000000)
	s_add_i32 s6, s6, -1
	v_add_u32_e32 v175, 0x80, v175
	v_add_u32_e32 v176, 0x80, v176
	;; [unrolled: 1-line block ×7, first 2 shown]
	s_cmp_lg_u32 s6, 0
	v_add_u32_e32 v182, 0x80, v182
	s_cbranch_scc1 .LBB1_11
; %bb.12:
	s_waitcnt vmcnt(6) lgkmcnt(11)
	v_mfma_f32_16x16x32_bf16 v[22:25], v[94:97], v[82:85], v[158:161]
	v_lshlrev_b32_e32 v0, 3, v0
	s_lshl_b64 s[0:1], s[18:19], 1
	v_and_b32_e32 v0, 56, v0
	s_waitcnt vmcnt(4) lgkmcnt(10)
	v_mfma_f32_16x16x32_bf16 v[30:33], v[94:97], v[78:81], v[154:157]
	s_add_u32 s6, s16, s0
	v_lshlrev_b32_e32 v1, 1, v1
	s_addc_u32 s7, s17, s1
	s_waitcnt lgkmcnt(9)
	v_mfma_f32_16x16x32_bf16 v[34:37], v[94:97], v[74:77], v[150:153]
	s_waitcnt lgkmcnt(0)
	s_barrier
	s_waitcnt vmcnt(2)
	v_mfma_f32_16x16x32_bf16 v[38:41], v[94:97], v[70:73], v[146:149]
	v_mfma_f32_16x16x32_bf16 v[22:25], v[62:65], v[18:21], v[22:25]
	;; [unrolled: 1-line block ×6, first 2 shown]
	s_nop 2
	v_and_b32_e32 v30, 12, v164
	v_mfma_f32_16x16x32_bf16 v[42:45], v[90:93], v[82:85], v[142:145]
	v_and_or_b32 v30, v163, 16, v30
	v_lshl_or_b32 v1, v30, 7, v1
	s_waitcnt vmcnt(1)
	v_mfma_f32_16x16x32_bf16 v[54:57], v[90:93], v[78:81], v[138:141]
	v_mfma_f32_16x16x32_bf16 v[90:93], v[90:93], v[70:73], v[130:133]
	;; [unrolled: 1-line block ×8, first 2 shown]
	v_lshl_or_b32 v70, s20, 7, v163
	v_lshl_or_b32 v71, v163, 6, v0
	v_cmp_gt_i32_e64 s[2:3], s4, v70
	v_mfma_f32_16x16x32_bf16 v[66:69], v[62:65], v[6:9], v[34:37]
	v_mfma_f32_16x16x32_bf16 v[58:61], v[62:65], v[10:13], v[38:41]
	v_or_b32_e32 v64, s10, v0
	v_mad_u64_u32 v[62:63], s[0:1], v70, s9, v[64:65]
	v_lshl_add_u32 v65, v162, 1, v1
	s_nop 0
	v_cvt_pk_bf16_f32 v0, v22, s0
	ds_write_b16 v65, v0
	v_cvt_pk_bf16_f32 v0, v23, s0
	ds_write_b16 v65, v0 offset:128
	v_cvt_pk_bf16_f32 v0, v24, s0
	ds_write_b16 v65, v0 offset:256
	;; [unrolled: 2-line block ×6, first 2 shown]
	v_cvt_pk_bf16_f32 v0, v102, s0
	s_waitcnt vmcnt(0)
	v_mfma_f32_16x16x32_bf16 v[50:53], v[46:49], v[18:21], v[42:45]
	ds_write_b16 v65, v0 offset:64
	v_cmp_gt_i32_e32 vcc, s5, v64
	s_and_b64 s[10:11], s[2:3], vcc
	v_mfma_f32_16x16x32_bf16 v[42:45], v[46:49], v[14:17], v[54:57]
	v_ashrrev_i32_e32 v63, 31, v62
	s_waitcnt lgkmcnt(0)
	s_barrier
	v_mfma_f32_16x16x32_bf16 v[54:57], v[46:49], v[6:9], v[94:97]
	v_mfma_f32_16x16x32_bf16 v[46:49], v[46:49], v[10:13], v[90:93]
	;; [unrolled: 1-line block ×6, first 2 shown]
	v_lshlrev_b32_e32 v26, 1, v71
	v_mfma_f32_16x16x32_bf16 v[18:21], v[2:5], v[18:21], v[82:85]
	v_mfma_f32_16x16x32_bf16 v[14:17], v[2:5], v[14:17], v[78:81]
	v_mfma_f32_16x16x32_bf16 v[6:9], v[2:5], v[6:9], v[74:77]
	v_mfma_f32_16x16x32_bf16 v[0:3], v[2:5], v[10:13], v[98:101]
	s_and_saveexec_b64 s[0:1], s[10:11]
	s_cbranch_execz .LBB1_14
; %bb.13:
	ds_read_b128 v[10:13], v26
	v_lshl_add_u64 v[4:5], v[62:63], 1, s[6:7]
	s_waitcnt lgkmcnt(0)
	global_atomic_pk_add_bf16 v[4:5], v10, off
	global_atomic_pk_add_bf16 v[4:5], v11, off offset:4
	global_atomic_pk_add_bf16 v[4:5], v12, off offset:8
	;; [unrolled: 1-line block ×3, first 2 shown]
.LBB1_14:
	s_or_b64 exec, exec, s[0:1]
	v_cvt_pk_bf16_f32 v5, v66, s0
	s_waitcnt lgkmcnt(0)
	s_barrier
	ds_write_b16 v65, v5
	v_cvt_pk_bf16_f32 v5, v67, s0
	ds_write_b16 v65, v5 offset:128
	v_cvt_pk_bf16_f32 v5, v68, s0
	ds_write_b16 v65, v5 offset:256
	;; [unrolled: 2-line block ×4, first 2 shown]
	v_cvt_pk_bf16_f32 v5, v60, s0
	v_or_b32_e32 v4, 64, v64
	ds_write_b16 v65, v5 offset:320
	v_cvt_pk_bf16_f32 v5, v59, s0
	ds_write_b16 v65, v5 offset:192
	v_cvt_pk_bf16_f32 v5, v58, s0
	v_cmp_gt_i32_e64 s[0:1], s5, v4
	s_and_b64 s[10:11], s[2:3], s[0:1]
	ds_write_b16 v65, v5 offset:64
	s_waitcnt lgkmcnt(0)
	s_barrier
	s_and_saveexec_b64 s[2:3], s[10:11]
	s_cbranch_execz .LBB1_16
; %bb.15:
	ds_read_b128 v[10:13], v26
	v_lshl_add_u64 v[4:5], v[62:63], 1, s[6:7]
	s_waitcnt lgkmcnt(0)
	global_atomic_pk_add_bf16 v[4:5], v10, off offset:128
	global_atomic_pk_add_bf16 v[4:5], v11, off offset:132
	;; [unrolled: 1-line block ×4, first 2 shown]
.LBB1_16:
	s_or_b64 exec, exec, s[2:3]
	v_cvt_pk_bf16_f32 v5, v54, s0
	s_waitcnt lgkmcnt(0)
	s_barrier
	ds_write_b16 v65, v5
	v_cvt_pk_bf16_f32 v5, v55, s0
	ds_write_b16 v65, v5 offset:128
	v_cvt_pk_bf16_f32 v5, v56, s0
	ds_write_b16 v65, v5 offset:256
	;; [unrolled: 2-line block ×3, first 2 shown]
	v_cvt_pk_bf16_f32 v5, v49, s0
	v_or_b32_e32 v4, 32, v70
	ds_write_b16 v65, v5 offset:448
	v_cvt_pk_bf16_f32 v5, v48, s0
	ds_write_b16 v65, v5 offset:320
	v_cvt_pk_bf16_f32 v5, v47, s0
	v_cmp_gt_i32_e64 s[2:3], s4, v4
	s_lshl_b32 s5, s9, 5
	ds_write_b16 v65, v5 offset:192
	v_cvt_pk_bf16_f32 v5, v46, s0
	s_and_b64 s[10:11], s[2:3], s[0:1]
	ds_write_b16 v65, v5 offset:64
	s_waitcnt lgkmcnt(0)
	s_barrier
	s_and_saveexec_b64 s[8:9], s[10:11]
	s_cbranch_execz .LBB1_18
; %bb.17:
	ds_read_b128 v[10:13], v26
	v_add3_u32 v4, v62, s5, 64
	v_ashrrev_i32_e32 v5, 31, v4
	v_lshl_add_u64 v[4:5], v[4:5], 1, s[6:7]
	s_waitcnt lgkmcnt(0)
	global_atomic_pk_add_bf16 v[4:5], v10, off
	global_atomic_pk_add_bf16 v[4:5], v11, off offset:4
	global_atomic_pk_add_bf16 v[4:5], v12, off offset:8
	;; [unrolled: 1-line block ×3, first 2 shown]
.LBB1_18:
	s_or_b64 exec, exec, s[8:9]
	v_cvt_pk_bf16_f32 v5, v50, s0
	s_waitcnt lgkmcnt(0)
	s_barrier
	ds_write_b16 v65, v5
	v_cvt_pk_bf16_f32 v5, v51, s0
	ds_write_b16 v65, v5 offset:128
	v_cvt_pk_bf16_f32 v5, v52, s0
	ds_write_b16 v65, v5 offset:256
	;; [unrolled: 2-line block ×5, first 2 shown]
	v_cvt_pk_bf16_f32 v5, v43, s0
	v_add_u32_e32 v4, s5, v62
	ds_write_b16 v65, v5 offset:192
	v_cvt_pk_bf16_f32 v5, v42, s0
	s_and_b64 s[8:9], vcc, s[2:3]
	ds_write_b16 v65, v5 offset:64
	s_waitcnt lgkmcnt(0)
	s_barrier
	s_and_saveexec_b64 s[2:3], s[8:9]
	s_cbranch_execz .LBB1_20
; %bb.19:
	ds_read_b128 v[10:13], v26
	v_ashrrev_i32_e32 v5, 31, v4
	v_lshl_add_u64 v[28:29], v[4:5], 1, s[6:7]
	s_waitcnt lgkmcnt(0)
	global_atomic_pk_add_bf16 v[28:29], v10, off
	global_atomic_pk_add_bf16 v[28:29], v11, off offset:4
	global_atomic_pk_add_bf16 v[28:29], v12, off offset:8
	;; [unrolled: 1-line block ×3, first 2 shown]
.LBB1_20:
	s_or_b64 exec, exec, s[2:3]
	v_cvt_pk_bf16_f32 v10, v38, s0
	s_waitcnt lgkmcnt(0)
	s_barrier
	ds_write_b16 v65, v10
	v_cvt_pk_bf16_f32 v10, v39, s0
	ds_write_b16 v65, v10 offset:128
	v_cvt_pk_bf16_f32 v10, v40, s0
	ds_write_b16 v65, v10 offset:256
	;; [unrolled: 2-line block ×3, first 2 shown]
	v_cvt_pk_bf16_f32 v10, v37, s0
	v_or_b32_e32 v5, 64, v70
	ds_write_b16 v65, v10 offset:448
	v_cvt_pk_bf16_f32 v10, v36, s0
	v_add_u32_e32 v4, s5, v4
	ds_write_b16 v65, v10 offset:320
	v_cvt_pk_bf16_f32 v10, v35, s0
	v_cmp_gt_i32_e64 s[2:3], s4, v5
	ds_write_b16 v65, v10 offset:192
	v_cvt_pk_bf16_f32 v10, v34, s0
	s_and_b64 s[10:11], vcc, s[2:3]
	v_ashrrev_i32_e32 v5, 31, v4
	ds_write_b16 v65, v10 offset:64
	s_waitcnt lgkmcnt(0)
	s_barrier
	s_and_saveexec_b64 s[8:9], s[10:11]
	s_cbranch_execz .LBB1_22
; %bb.21:
	ds_read_b128 v[10:13], v26
	v_lshl_add_u64 v[28:29], v[4:5], 1, s[6:7]
	s_waitcnt lgkmcnt(0)
	global_atomic_pk_add_bf16 v[28:29], v10, off
	global_atomic_pk_add_bf16 v[28:29], v11, off offset:4
	global_atomic_pk_add_bf16 v[28:29], v12, off offset:8
	;; [unrolled: 1-line block ×3, first 2 shown]
.LBB1_22:
	s_or_b64 exec, exec, s[8:9]
	v_cvt_pk_bf16_f32 v10, v30, s0
	s_waitcnt lgkmcnt(0)
	s_barrier
	ds_write_b16 v65, v10
	v_cvt_pk_bf16_f32 v10, v31, s0
	ds_write_b16 v65, v10 offset:128
	v_cvt_pk_bf16_f32 v10, v32, s0
	ds_write_b16 v65, v10 offset:256
	;; [unrolled: 2-line block ×6, first 2 shown]
	v_cvt_pk_bf16_f32 v10, v22, s0
	s_and_b64 s[8:9], s[2:3], s[0:1]
	ds_write_b16 v65, v10 offset:64
	s_waitcnt lgkmcnt(0)
	s_barrier
	s_and_saveexec_b64 s[2:3], s[8:9]
	s_cbranch_execz .LBB1_24
; %bb.23:
	ds_read_b128 v[10:13], v26
	v_lshl_add_u64 v[22:23], v[4:5], 1, s[6:7]
	s_waitcnt lgkmcnt(0)
	global_atomic_pk_add_bf16 v[22:23], v10, off offset:128
	global_atomic_pk_add_bf16 v[22:23], v11, off offset:132
	;; [unrolled: 1-line block ×4, first 2 shown]
.LBB1_24:
	s_or_b64 exec, exec, s[2:3]
	v_cvt_pk_bf16_f32 v6, v6, s0
	v_or_b32_e32 v5, 0x60, v70
	s_waitcnt lgkmcnt(0)
	s_barrier
	ds_write_b16 v65, v6
	v_cvt_pk_bf16_f32 v6, v7, s0
	ds_write_b16 v65, v6 offset:128
	v_cvt_pk_bf16_f32 v6, v8, s0
	v_cmp_gt_i32_e64 s[2:3], s4, v5
	ds_write_b16 v65, v6 offset:256
	v_cvt_pk_bf16_f32 v6, v9, s0
	v_cvt_pk_bf16_f32 v3, v3, s0
	;; [unrolled: 1-line block ×5, first 2 shown]
	s_and_b64 s[8:9], s[2:3], s[0:1]
	ds_write_b16 v65, v6 offset:384
	ds_write_b16 v65, v3 offset:448
	;; [unrolled: 1-line block ×5, first 2 shown]
	s_waitcnt lgkmcnt(0)
	s_barrier
	s_and_saveexec_b64 s[0:1], s[8:9]
	s_cbranch_execz .LBB1_26
; %bb.25:
	ds_read_b128 v[0:3], v26
	v_add3_u32 v6, v4, s5, 64
	v_ashrrev_i32_e32 v7, 31, v6
	v_lshl_add_u64 v[6:7], v[6:7], 1, s[6:7]
	s_waitcnt lgkmcnt(0)
	global_atomic_pk_add_bf16 v[6:7], v0, off
	global_atomic_pk_add_bf16 v[6:7], v1, off offset:4
	global_atomic_pk_add_bf16 v[6:7], v2, off offset:8
	;; [unrolled: 1-line block ×3, first 2 shown]
.LBB1_26:
	s_or_b64 exec, exec, s[0:1]
	v_cvt_pk_bf16_f32 v0, v18, s0
	s_waitcnt lgkmcnt(0)
	s_barrier
	ds_write_b16 v65, v0
	v_cvt_pk_bf16_f32 v0, v19, s0
	ds_write_b16 v65, v0 offset:128
	v_cvt_pk_bf16_f32 v0, v20, s0
	ds_write_b16 v65, v0 offset:256
	;; [unrolled: 2-line block ×6, first 2 shown]
	v_cvt_pk_bf16_f32 v0, v14, s0
	s_and_b64 s[0:1], vcc, s[2:3]
	ds_write_b16 v65, v0 offset:64
	s_waitcnt lgkmcnt(0)
	s_barrier
	s_and_saveexec_b64 s[2:3], s[0:1]
	s_cbranch_execz .LBB1_28
; %bb.27:
	ds_read_b128 v[0:3], v26
	v_add_u32_e32 v4, s5, v4
	v_ashrrev_i32_e32 v5, 31, v4
	v_lshl_add_u64 v[4:5], v[4:5], 1, s[6:7]
	s_waitcnt lgkmcnt(0)
	global_atomic_pk_add_bf16 v[4:5], v0, off
	global_atomic_pk_add_bf16 v[4:5], v1, off offset:4
	global_atomic_pk_add_bf16 v[4:5], v2, off offset:8
	;; [unrolled: 1-line block ×3, first 2 shown]
.LBB1_28:
	s_endpgm
	.section	.rodata,"a",@progbits
	.p2align	6, 0x0
	.amdhsa_kernel _ZN2ck27kernel_gemm_xdl_cshuffle_v3INS_28GridwiseGemm_xdl_cshuffle_v3INS_13tensor_layout4gemm8RowMajorENS3_11ColumnMajorES4_DF16bDF16bfDF16bDF16bNS_16tensor_operation12element_wise11PassThroughES8_S8_LNS6_6device18GemmSpecializationE0ELi256ELi128ELi128ELi64ELi8ELi8ELi16ELi16ELi4ELi4ENS_8SequenceIJLi8ELi32ELi1EEEENSB_IJLi1ELi0ELi2EEEESD_Li2ELi8ELi8ELb0ELi0ESC_SD_SD_Li2ELi8ELi8ELb0ELi0ELi1ELi2ENSB_IJLi1ELi32ELi1ELi8EEEELi8ELNS_26BlockGemmPipelineSchedulerE0ELNS_24BlockGemmPipelineVersionE2EDF16bDF16bLb0ELb0ELb0ELi0ELb0EEELb1ELNS_25InMemoryDataOperationEnumE1ELi2ELNS_10TailNumberE10EEEvNT_8ArgumentE
		.amdhsa_group_segment_fixed_size 32768
		.amdhsa_private_segment_fixed_size 0
		.amdhsa_kernarg_size 112
		.amdhsa_user_sgpr_count 2
		.amdhsa_user_sgpr_dispatch_ptr 0
		.amdhsa_user_sgpr_queue_ptr 0
		.amdhsa_user_sgpr_kernarg_segment_ptr 1
		.amdhsa_user_sgpr_dispatch_id 0
		.amdhsa_user_sgpr_kernarg_preload_length 0
		.amdhsa_user_sgpr_kernarg_preload_offset 0
		.amdhsa_user_sgpr_private_segment_size 0
		.amdhsa_uses_dynamic_stack 0
		.amdhsa_enable_private_segment 0
		.amdhsa_system_sgpr_workgroup_id_x 1
		.amdhsa_system_sgpr_workgroup_id_y 0
		.amdhsa_system_sgpr_workgroup_id_z 1
		.amdhsa_system_sgpr_workgroup_info 0
		.amdhsa_system_vgpr_workitem_id 0
		.amdhsa_next_free_vgpr 187
		.amdhsa_next_free_sgpr 96
		.amdhsa_accum_offset 188
		.amdhsa_reserve_vcc 1
		.amdhsa_float_round_mode_32 0
		.amdhsa_float_round_mode_16_64 0
		.amdhsa_float_denorm_mode_32 3
		.amdhsa_float_denorm_mode_16_64 3
		.amdhsa_dx10_clamp 1
		.amdhsa_ieee_mode 1
		.amdhsa_fp16_overflow 0
		.amdhsa_tg_split 0
		.amdhsa_exception_fp_ieee_invalid_op 0
		.amdhsa_exception_fp_denorm_src 0
		.amdhsa_exception_fp_ieee_div_zero 0
		.amdhsa_exception_fp_ieee_overflow 0
		.amdhsa_exception_fp_ieee_underflow 0
		.amdhsa_exception_fp_ieee_inexact 0
		.amdhsa_exception_int_div_zero 0
	.end_amdhsa_kernel
	.section	.text._ZN2ck27kernel_gemm_xdl_cshuffle_v3INS_28GridwiseGemm_xdl_cshuffle_v3INS_13tensor_layout4gemm8RowMajorENS3_11ColumnMajorES4_DF16bDF16bfDF16bDF16bNS_16tensor_operation12element_wise11PassThroughES8_S8_LNS6_6device18GemmSpecializationE0ELi256ELi128ELi128ELi64ELi8ELi8ELi16ELi16ELi4ELi4ENS_8SequenceIJLi8ELi32ELi1EEEENSB_IJLi1ELi0ELi2EEEESD_Li2ELi8ELi8ELb0ELi0ESC_SD_SD_Li2ELi8ELi8ELb0ELi0ELi1ELi2ENSB_IJLi1ELi32ELi1ELi8EEEELi8ELNS_26BlockGemmPipelineSchedulerE0ELNS_24BlockGemmPipelineVersionE2EDF16bDF16bLb0ELb0ELb0ELi0ELb0EEELb1ELNS_25InMemoryDataOperationEnumE1ELi2ELNS_10TailNumberE10EEEvNT_8ArgumentE,"axG",@progbits,_ZN2ck27kernel_gemm_xdl_cshuffle_v3INS_28GridwiseGemm_xdl_cshuffle_v3INS_13tensor_layout4gemm8RowMajorENS3_11ColumnMajorES4_DF16bDF16bfDF16bDF16bNS_16tensor_operation12element_wise11PassThroughES8_S8_LNS6_6device18GemmSpecializationE0ELi256ELi128ELi128ELi64ELi8ELi8ELi16ELi16ELi4ELi4ENS_8SequenceIJLi8ELi32ELi1EEEENSB_IJLi1ELi0ELi2EEEESD_Li2ELi8ELi8ELb0ELi0ESC_SD_SD_Li2ELi8ELi8ELb0ELi0ELi1ELi2ENSB_IJLi1ELi32ELi1ELi8EEEELi8ELNS_26BlockGemmPipelineSchedulerE0ELNS_24BlockGemmPipelineVersionE2EDF16bDF16bLb0ELb0ELb0ELi0ELb0EEELb1ELNS_25InMemoryDataOperationEnumE1ELi2ELNS_10TailNumberE10EEEvNT_8ArgumentE,comdat
.Lfunc_end1:
	.size	_ZN2ck27kernel_gemm_xdl_cshuffle_v3INS_28GridwiseGemm_xdl_cshuffle_v3INS_13tensor_layout4gemm8RowMajorENS3_11ColumnMajorES4_DF16bDF16bfDF16bDF16bNS_16tensor_operation12element_wise11PassThroughES8_S8_LNS6_6device18GemmSpecializationE0ELi256ELi128ELi128ELi64ELi8ELi8ELi16ELi16ELi4ELi4ENS_8SequenceIJLi8ELi32ELi1EEEENSB_IJLi1ELi0ELi2EEEESD_Li2ELi8ELi8ELb0ELi0ESC_SD_SD_Li2ELi8ELi8ELb0ELi0ELi1ELi2ENSB_IJLi1ELi32ELi1ELi8EEEELi8ELNS_26BlockGemmPipelineSchedulerE0ELNS_24BlockGemmPipelineVersionE2EDF16bDF16bLb0ELb0ELb0ELi0ELb0EEELb1ELNS_25InMemoryDataOperationEnumE1ELi2ELNS_10TailNumberE10EEEvNT_8ArgumentE, .Lfunc_end1-_ZN2ck27kernel_gemm_xdl_cshuffle_v3INS_28GridwiseGemm_xdl_cshuffle_v3INS_13tensor_layout4gemm8RowMajorENS3_11ColumnMajorES4_DF16bDF16bfDF16bDF16bNS_16tensor_operation12element_wise11PassThroughES8_S8_LNS6_6device18GemmSpecializationE0ELi256ELi128ELi128ELi64ELi8ELi8ELi16ELi16ELi4ELi4ENS_8SequenceIJLi8ELi32ELi1EEEENSB_IJLi1ELi0ELi2EEEESD_Li2ELi8ELi8ELb0ELi0ESC_SD_SD_Li2ELi8ELi8ELb0ELi0ELi1ELi2ENSB_IJLi1ELi32ELi1ELi8EEEELi8ELNS_26BlockGemmPipelineSchedulerE0ELNS_24BlockGemmPipelineVersionE2EDF16bDF16bLb0ELb0ELb0ELi0ELb0EEELb1ELNS_25InMemoryDataOperationEnumE1ELi2ELNS_10TailNumberE10EEEvNT_8ArgumentE
                                        ; -- End function
	.set _ZN2ck27kernel_gemm_xdl_cshuffle_v3INS_28GridwiseGemm_xdl_cshuffle_v3INS_13tensor_layout4gemm8RowMajorENS3_11ColumnMajorES4_DF16bDF16bfDF16bDF16bNS_16tensor_operation12element_wise11PassThroughES8_S8_LNS6_6device18GemmSpecializationE0ELi256ELi128ELi128ELi64ELi8ELi8ELi16ELi16ELi4ELi4ENS_8SequenceIJLi8ELi32ELi1EEEENSB_IJLi1ELi0ELi2EEEESD_Li2ELi8ELi8ELb0ELi0ESC_SD_SD_Li2ELi8ELi8ELb0ELi0ELi1ELi2ENSB_IJLi1ELi32ELi1ELi8EEEELi8ELNS_26BlockGemmPipelineSchedulerE0ELNS_24BlockGemmPipelineVersionE2EDF16bDF16bLb0ELb0ELb0ELi0ELb0EEELb1ELNS_25InMemoryDataOperationEnumE1ELi2ELNS_10TailNumberE10EEEvNT_8ArgumentE.num_vgpr, 187
	.set _ZN2ck27kernel_gemm_xdl_cshuffle_v3INS_28GridwiseGemm_xdl_cshuffle_v3INS_13tensor_layout4gemm8RowMajorENS3_11ColumnMajorES4_DF16bDF16bfDF16bDF16bNS_16tensor_operation12element_wise11PassThroughES8_S8_LNS6_6device18GemmSpecializationE0ELi256ELi128ELi128ELi64ELi8ELi8ELi16ELi16ELi4ELi4ENS_8SequenceIJLi8ELi32ELi1EEEENSB_IJLi1ELi0ELi2EEEESD_Li2ELi8ELi8ELb0ELi0ESC_SD_SD_Li2ELi8ELi8ELb0ELi0ELi1ELi2ENSB_IJLi1ELi32ELi1ELi8EEEELi8ELNS_26BlockGemmPipelineSchedulerE0ELNS_24BlockGemmPipelineVersionE2EDF16bDF16bLb0ELb0ELb0ELi0ELb0EEELb1ELNS_25InMemoryDataOperationEnumE1ELi2ELNS_10TailNumberE10EEEvNT_8ArgumentE.num_agpr, 0
	.set _ZN2ck27kernel_gemm_xdl_cshuffle_v3INS_28GridwiseGemm_xdl_cshuffle_v3INS_13tensor_layout4gemm8RowMajorENS3_11ColumnMajorES4_DF16bDF16bfDF16bDF16bNS_16tensor_operation12element_wise11PassThroughES8_S8_LNS6_6device18GemmSpecializationE0ELi256ELi128ELi128ELi64ELi8ELi8ELi16ELi16ELi4ELi4ENS_8SequenceIJLi8ELi32ELi1EEEENSB_IJLi1ELi0ELi2EEEESD_Li2ELi8ELi8ELb0ELi0ESC_SD_SD_Li2ELi8ELi8ELb0ELi0ELi1ELi2ENSB_IJLi1ELi32ELi1ELi8EEEELi8ELNS_26BlockGemmPipelineSchedulerE0ELNS_24BlockGemmPipelineVersionE2EDF16bDF16bLb0ELb0ELb0ELi0ELb0EEELb1ELNS_25InMemoryDataOperationEnumE1ELi2ELNS_10TailNumberE10EEEvNT_8ArgumentE.numbered_sgpr, 29
	.set _ZN2ck27kernel_gemm_xdl_cshuffle_v3INS_28GridwiseGemm_xdl_cshuffle_v3INS_13tensor_layout4gemm8RowMajorENS3_11ColumnMajorES4_DF16bDF16bfDF16bDF16bNS_16tensor_operation12element_wise11PassThroughES8_S8_LNS6_6device18GemmSpecializationE0ELi256ELi128ELi128ELi64ELi8ELi8ELi16ELi16ELi4ELi4ENS_8SequenceIJLi8ELi32ELi1EEEENSB_IJLi1ELi0ELi2EEEESD_Li2ELi8ELi8ELb0ELi0ESC_SD_SD_Li2ELi8ELi8ELb0ELi0ELi1ELi2ENSB_IJLi1ELi32ELi1ELi8EEEELi8ELNS_26BlockGemmPipelineSchedulerE0ELNS_24BlockGemmPipelineVersionE2EDF16bDF16bLb0ELb0ELb0ELi0ELb0EEELb1ELNS_25InMemoryDataOperationEnumE1ELi2ELNS_10TailNumberE10EEEvNT_8ArgumentE.num_named_barrier, 0
	.set _ZN2ck27kernel_gemm_xdl_cshuffle_v3INS_28GridwiseGemm_xdl_cshuffle_v3INS_13tensor_layout4gemm8RowMajorENS3_11ColumnMajorES4_DF16bDF16bfDF16bDF16bNS_16tensor_operation12element_wise11PassThroughES8_S8_LNS6_6device18GemmSpecializationE0ELi256ELi128ELi128ELi64ELi8ELi8ELi16ELi16ELi4ELi4ENS_8SequenceIJLi8ELi32ELi1EEEENSB_IJLi1ELi0ELi2EEEESD_Li2ELi8ELi8ELb0ELi0ESC_SD_SD_Li2ELi8ELi8ELb0ELi0ELi1ELi2ENSB_IJLi1ELi32ELi1ELi8EEEELi8ELNS_26BlockGemmPipelineSchedulerE0ELNS_24BlockGemmPipelineVersionE2EDF16bDF16bLb0ELb0ELb0ELi0ELb0EEELb1ELNS_25InMemoryDataOperationEnumE1ELi2ELNS_10TailNumberE10EEEvNT_8ArgumentE.private_seg_size, 0
	.set _ZN2ck27kernel_gemm_xdl_cshuffle_v3INS_28GridwiseGemm_xdl_cshuffle_v3INS_13tensor_layout4gemm8RowMajorENS3_11ColumnMajorES4_DF16bDF16bfDF16bDF16bNS_16tensor_operation12element_wise11PassThroughES8_S8_LNS6_6device18GemmSpecializationE0ELi256ELi128ELi128ELi64ELi8ELi8ELi16ELi16ELi4ELi4ENS_8SequenceIJLi8ELi32ELi1EEEENSB_IJLi1ELi0ELi2EEEESD_Li2ELi8ELi8ELb0ELi0ESC_SD_SD_Li2ELi8ELi8ELb0ELi0ELi1ELi2ENSB_IJLi1ELi32ELi1ELi8EEEELi8ELNS_26BlockGemmPipelineSchedulerE0ELNS_24BlockGemmPipelineVersionE2EDF16bDF16bLb0ELb0ELb0ELi0ELb0EEELb1ELNS_25InMemoryDataOperationEnumE1ELi2ELNS_10TailNumberE10EEEvNT_8ArgumentE.uses_vcc, 1
	.set _ZN2ck27kernel_gemm_xdl_cshuffle_v3INS_28GridwiseGemm_xdl_cshuffle_v3INS_13tensor_layout4gemm8RowMajorENS3_11ColumnMajorES4_DF16bDF16bfDF16bDF16bNS_16tensor_operation12element_wise11PassThroughES8_S8_LNS6_6device18GemmSpecializationE0ELi256ELi128ELi128ELi64ELi8ELi8ELi16ELi16ELi4ELi4ENS_8SequenceIJLi8ELi32ELi1EEEENSB_IJLi1ELi0ELi2EEEESD_Li2ELi8ELi8ELb0ELi0ESC_SD_SD_Li2ELi8ELi8ELb0ELi0ELi1ELi2ENSB_IJLi1ELi32ELi1ELi8EEEELi8ELNS_26BlockGemmPipelineSchedulerE0ELNS_24BlockGemmPipelineVersionE2EDF16bDF16bLb0ELb0ELb0ELi0ELb0EEELb1ELNS_25InMemoryDataOperationEnumE1ELi2ELNS_10TailNumberE10EEEvNT_8ArgumentE.uses_flat_scratch, 0
	.set _ZN2ck27kernel_gemm_xdl_cshuffle_v3INS_28GridwiseGemm_xdl_cshuffle_v3INS_13tensor_layout4gemm8RowMajorENS3_11ColumnMajorES4_DF16bDF16bfDF16bDF16bNS_16tensor_operation12element_wise11PassThroughES8_S8_LNS6_6device18GemmSpecializationE0ELi256ELi128ELi128ELi64ELi8ELi8ELi16ELi16ELi4ELi4ENS_8SequenceIJLi8ELi32ELi1EEEENSB_IJLi1ELi0ELi2EEEESD_Li2ELi8ELi8ELb0ELi0ESC_SD_SD_Li2ELi8ELi8ELb0ELi0ELi1ELi2ENSB_IJLi1ELi32ELi1ELi8EEEELi8ELNS_26BlockGemmPipelineSchedulerE0ELNS_24BlockGemmPipelineVersionE2EDF16bDF16bLb0ELb0ELb0ELi0ELb0EEELb1ELNS_25InMemoryDataOperationEnumE1ELi2ELNS_10TailNumberE10EEEvNT_8ArgumentE.has_dyn_sized_stack, 0
	.set _ZN2ck27kernel_gemm_xdl_cshuffle_v3INS_28GridwiseGemm_xdl_cshuffle_v3INS_13tensor_layout4gemm8RowMajorENS3_11ColumnMajorES4_DF16bDF16bfDF16bDF16bNS_16tensor_operation12element_wise11PassThroughES8_S8_LNS6_6device18GemmSpecializationE0ELi256ELi128ELi128ELi64ELi8ELi8ELi16ELi16ELi4ELi4ENS_8SequenceIJLi8ELi32ELi1EEEENSB_IJLi1ELi0ELi2EEEESD_Li2ELi8ELi8ELb0ELi0ESC_SD_SD_Li2ELi8ELi8ELb0ELi0ELi1ELi2ENSB_IJLi1ELi32ELi1ELi8EEEELi8ELNS_26BlockGemmPipelineSchedulerE0ELNS_24BlockGemmPipelineVersionE2EDF16bDF16bLb0ELb0ELb0ELi0ELb0EEELb1ELNS_25InMemoryDataOperationEnumE1ELi2ELNS_10TailNumberE10EEEvNT_8ArgumentE.has_recursion, 0
	.set _ZN2ck27kernel_gemm_xdl_cshuffle_v3INS_28GridwiseGemm_xdl_cshuffle_v3INS_13tensor_layout4gemm8RowMajorENS3_11ColumnMajorES4_DF16bDF16bfDF16bDF16bNS_16tensor_operation12element_wise11PassThroughES8_S8_LNS6_6device18GemmSpecializationE0ELi256ELi128ELi128ELi64ELi8ELi8ELi16ELi16ELi4ELi4ENS_8SequenceIJLi8ELi32ELi1EEEENSB_IJLi1ELi0ELi2EEEESD_Li2ELi8ELi8ELb0ELi0ESC_SD_SD_Li2ELi8ELi8ELb0ELi0ELi1ELi2ENSB_IJLi1ELi32ELi1ELi8EEEELi8ELNS_26BlockGemmPipelineSchedulerE0ELNS_24BlockGemmPipelineVersionE2EDF16bDF16bLb0ELb0ELb0ELi0ELb0EEELb1ELNS_25InMemoryDataOperationEnumE1ELi2ELNS_10TailNumberE10EEEvNT_8ArgumentE.has_indirect_call, 0
	.section	.AMDGPU.csdata,"",@progbits
; Kernel info:
; codeLenInByte = 4864
; TotalNumSgprs: 35
; NumVgprs: 187
; NumAgprs: 0
; TotalNumVgprs: 187
; ScratchSize: 0
; MemoryBound: 0
; FloatMode: 240
; IeeeMode: 1
; LDSByteSize: 32768 bytes/workgroup (compile time only)
; SGPRBlocks: 12
; VGPRBlocks: 23
; NumSGPRsForWavesPerEU: 102
; NumVGPRsForWavesPerEU: 187
; AccumOffset: 188
; Occupancy: 2
; WaveLimiterHint : 0
; COMPUTE_PGM_RSRC2:SCRATCH_EN: 0
; COMPUTE_PGM_RSRC2:USER_SGPR: 2
; COMPUTE_PGM_RSRC2:TRAP_HANDLER: 0
; COMPUTE_PGM_RSRC2:TGID_X_EN: 1
; COMPUTE_PGM_RSRC2:TGID_Y_EN: 0
; COMPUTE_PGM_RSRC2:TGID_Z_EN: 1
; COMPUTE_PGM_RSRC2:TIDIG_COMP_CNT: 0
; COMPUTE_PGM_RSRC3_GFX90A:ACCUM_OFFSET: 46
; COMPUTE_PGM_RSRC3_GFX90A:TG_SPLIT: 0
	.section	.text._ZN2ck27kernel_gemm_xdl_cshuffle_v3INS_28GridwiseGemm_xdl_cshuffle_v3INS_13tensor_layout4gemm8RowMajorENS3_11ColumnMajorES4_DF16bDF16bfDF16bDF16bNS_16tensor_operation12element_wise11PassThroughES8_S8_LNS6_6device18GemmSpecializationE0ELi256ELi128ELi128ELi64ELi8ELi8ELi16ELi16ELi4ELi4ENS_8SequenceIJLi8ELi32ELi1EEEENSB_IJLi1ELi0ELi2EEEESD_Li2ELi8ELi8ELb0ELi0ESC_SD_SD_Li2ELi8ELi8ELb0ELi0ELi1ELi2ENSB_IJLi1ELi32ELi1ELi8EEEELi8ELNS_26BlockGemmPipelineSchedulerE0ELNS_24BlockGemmPipelineVersionE2EDF16bDF16bLb0ELb0ELb0ELi0ELb0EEELb1ELNS_25InMemoryDataOperationEnumE0ELi2ELNS_10TailNumberE10EEEvNT_8ArgumentE,"axG",@progbits,_ZN2ck27kernel_gemm_xdl_cshuffle_v3INS_28GridwiseGemm_xdl_cshuffle_v3INS_13tensor_layout4gemm8RowMajorENS3_11ColumnMajorES4_DF16bDF16bfDF16bDF16bNS_16tensor_operation12element_wise11PassThroughES8_S8_LNS6_6device18GemmSpecializationE0ELi256ELi128ELi128ELi64ELi8ELi8ELi16ELi16ELi4ELi4ENS_8SequenceIJLi8ELi32ELi1EEEENSB_IJLi1ELi0ELi2EEEESD_Li2ELi8ELi8ELb0ELi0ESC_SD_SD_Li2ELi8ELi8ELb0ELi0ELi1ELi2ENSB_IJLi1ELi32ELi1ELi8EEEELi8ELNS_26BlockGemmPipelineSchedulerE0ELNS_24BlockGemmPipelineVersionE2EDF16bDF16bLb0ELb0ELb0ELi0ELb0EEELb1ELNS_25InMemoryDataOperationEnumE0ELi2ELNS_10TailNumberE10EEEvNT_8ArgumentE,comdat
	.protected	_ZN2ck27kernel_gemm_xdl_cshuffle_v3INS_28GridwiseGemm_xdl_cshuffle_v3INS_13tensor_layout4gemm8RowMajorENS3_11ColumnMajorES4_DF16bDF16bfDF16bDF16bNS_16tensor_operation12element_wise11PassThroughES8_S8_LNS6_6device18GemmSpecializationE0ELi256ELi128ELi128ELi64ELi8ELi8ELi16ELi16ELi4ELi4ENS_8SequenceIJLi8ELi32ELi1EEEENSB_IJLi1ELi0ELi2EEEESD_Li2ELi8ELi8ELb0ELi0ESC_SD_SD_Li2ELi8ELi8ELb0ELi0ELi1ELi2ENSB_IJLi1ELi32ELi1ELi8EEEELi8ELNS_26BlockGemmPipelineSchedulerE0ELNS_24BlockGemmPipelineVersionE2EDF16bDF16bLb0ELb0ELb0ELi0ELb0EEELb1ELNS_25InMemoryDataOperationEnumE0ELi2ELNS_10TailNumberE10EEEvNT_8ArgumentE ; -- Begin function _ZN2ck27kernel_gemm_xdl_cshuffle_v3INS_28GridwiseGemm_xdl_cshuffle_v3INS_13tensor_layout4gemm8RowMajorENS3_11ColumnMajorES4_DF16bDF16bfDF16bDF16bNS_16tensor_operation12element_wise11PassThroughES8_S8_LNS6_6device18GemmSpecializationE0ELi256ELi128ELi128ELi64ELi8ELi8ELi16ELi16ELi4ELi4ENS_8SequenceIJLi8ELi32ELi1EEEENSB_IJLi1ELi0ELi2EEEESD_Li2ELi8ELi8ELb0ELi0ESC_SD_SD_Li2ELi8ELi8ELb0ELi0ELi1ELi2ENSB_IJLi1ELi32ELi1ELi8EEEELi8ELNS_26BlockGemmPipelineSchedulerE0ELNS_24BlockGemmPipelineVersionE2EDF16bDF16bLb0ELb0ELb0ELi0ELb0EEELb1ELNS_25InMemoryDataOperationEnumE0ELi2ELNS_10TailNumberE10EEEvNT_8ArgumentE
	.globl	_ZN2ck27kernel_gemm_xdl_cshuffle_v3INS_28GridwiseGemm_xdl_cshuffle_v3INS_13tensor_layout4gemm8RowMajorENS3_11ColumnMajorES4_DF16bDF16bfDF16bDF16bNS_16tensor_operation12element_wise11PassThroughES8_S8_LNS6_6device18GemmSpecializationE0ELi256ELi128ELi128ELi64ELi8ELi8ELi16ELi16ELi4ELi4ENS_8SequenceIJLi8ELi32ELi1EEEENSB_IJLi1ELi0ELi2EEEESD_Li2ELi8ELi8ELb0ELi0ESC_SD_SD_Li2ELi8ELi8ELb0ELi0ELi1ELi2ENSB_IJLi1ELi32ELi1ELi8EEEELi8ELNS_26BlockGemmPipelineSchedulerE0ELNS_24BlockGemmPipelineVersionE2EDF16bDF16bLb0ELb0ELb0ELi0ELb0EEELb1ELNS_25InMemoryDataOperationEnumE0ELi2ELNS_10TailNumberE10EEEvNT_8ArgumentE
	.p2align	8
	.type	_ZN2ck27kernel_gemm_xdl_cshuffle_v3INS_28GridwiseGemm_xdl_cshuffle_v3INS_13tensor_layout4gemm8RowMajorENS3_11ColumnMajorES4_DF16bDF16bfDF16bDF16bNS_16tensor_operation12element_wise11PassThroughES8_S8_LNS6_6device18GemmSpecializationE0ELi256ELi128ELi128ELi64ELi8ELi8ELi16ELi16ELi4ELi4ENS_8SequenceIJLi8ELi32ELi1EEEENSB_IJLi1ELi0ELi2EEEESD_Li2ELi8ELi8ELb0ELi0ESC_SD_SD_Li2ELi8ELi8ELb0ELi0ELi1ELi2ENSB_IJLi1ELi32ELi1ELi8EEEELi8ELNS_26BlockGemmPipelineSchedulerE0ELNS_24BlockGemmPipelineVersionE2EDF16bDF16bLb0ELb0ELb0ELi0ELb0EEELb1ELNS_25InMemoryDataOperationEnumE0ELi2ELNS_10TailNumberE10EEEvNT_8ArgumentE,@function
_ZN2ck27kernel_gemm_xdl_cshuffle_v3INS_28GridwiseGemm_xdl_cshuffle_v3INS_13tensor_layout4gemm8RowMajorENS3_11ColumnMajorES4_DF16bDF16bfDF16bDF16bNS_16tensor_operation12element_wise11PassThroughES8_S8_LNS6_6device18GemmSpecializationE0ELi256ELi128ELi128ELi64ELi8ELi8ELi16ELi16ELi4ELi4ENS_8SequenceIJLi8ELi32ELi1EEEENSB_IJLi1ELi0ELi2EEEESD_Li2ELi8ELi8ELb0ELi0ESC_SD_SD_Li2ELi8ELi8ELb0ELi0ELi1ELi2ENSB_IJLi1ELi32ELi1ELi8EEEELi8ELNS_26BlockGemmPipelineSchedulerE0ELNS_24BlockGemmPipelineVersionE2EDF16bDF16bLb0ELb0ELb0ELi0ELb0EEELb1ELNS_25InMemoryDataOperationEnumE0ELi2ELNS_10TailNumberE10EEEvNT_8ArgumentE: ; @_ZN2ck27kernel_gemm_xdl_cshuffle_v3INS_28GridwiseGemm_xdl_cshuffle_v3INS_13tensor_layout4gemm8RowMajorENS3_11ColumnMajorES4_DF16bDF16bfDF16bDF16bNS_16tensor_operation12element_wise11PassThroughES8_S8_LNS6_6device18GemmSpecializationE0ELi256ELi128ELi128ELi64ELi8ELi8ELi16ELi16ELi4ELi4ENS_8SequenceIJLi8ELi32ELi1EEEENSB_IJLi1ELi0ELi2EEEESD_Li2ELi8ELi8ELb0ELi0ESC_SD_SD_Li2ELi8ELi8ELb0ELi0ELi1ELi2ENSB_IJLi1ELi32ELi1ELi8EEEELi8ELNS_26BlockGemmPipelineSchedulerE0ELNS_24BlockGemmPipelineVersionE2EDF16bDF16bLb0ELb0ELb0ELi0ELb0EEELb1ELNS_25InMemoryDataOperationEnumE0ELi2ELNS_10TailNumberE10EEEvNT_8ArgumentE
; %bb.0:
	s_load_dwordx8 s[4:11], s[0:1], 0x10
	s_load_dwordx2 s[16:17], s[0:1], 0x60
	s_waitcnt lgkmcnt(0)
	s_load_dword s11, s[0:1], 0x68
	s_load_dword s22, s[0:1], 0x3c
	s_load_dwordx4 s[12:15], s[0:1], 0x50
	s_cmp_gt_i32 s10, 1
	s_cselect_b64 s[18:19], -1, 0
	s_waitcnt lgkmcnt(0)
	s_bitcmp1_b32 s11, 0
	s_cselect_b64 s[20:21], -1, 0
	s_and_b64 s[18:19], s[18:19], s[20:21]
	s_andn2_b64 vcc, exec, s[18:19]
	s_mov_b64 s[18:19], 0
	s_cbranch_vccnz .LBB2_2
; %bb.1:
	s_mul_i32 s11, s4, s3
	s_mul_i32 s18, s11, s5
	s_ashr_i32 s19, s18, 31
.LBB2_2:
	s_load_dword s23, s[0:1], 0x34
	s_add_i32 s11, s4, -1
	s_mov_b32 s21, 0
	s_cmpk_lt_u32 s11, 0x80
	s_movk_i32 s20, 0x80
	s_cbranch_scc1 .LBB2_10
; %bb.3:
	s_add_i32 s0, s5, -1
	s_cmpk_lt_u32 s0, 0x80
	s_mov_b32 s0, 0
	s_cbranch_scc1 .LBB2_9
; %bb.4:
	s_add_i32 s0, s4, 0x7f
	s_ashr_i32 s1, s0, 31
	s_lshr_b32 s1, s1, 25
	s_add_i32 s0, s0, s1
	s_ashr_i32 s24, s0, 7
	s_add_i32 s0, s5, 0x7f
	s_ashr_i32 s1, s0, 31
	s_lshr_b32 s1, s1, 25
	s_add_i32 s0, s0, s1
	s_ashr_i32 s21, s0, 7
	s_mul_i32 s0, s21, s24
	s_add_i32 s1, s0, 7
	s_ashr_i32 s25, s1, 31
	s_lshr_b32 s25, s25, 29
	s_add_i32 s1, s1, s25
	s_ashr_i32 s25, s1, 3
	s_and_b32 s1, s1, -8
	s_sub_i32 s26, s0, s1
	s_ashr_i32 s0, s2, 31
	s_lshr_b32 s0, s0, 29
	s_add_i32 s28, s2, s0
	s_and_b32 s0, s28, -8
	s_add_i32 s26, s26, 8
	s_sub_i32 s27, s2, s0
	s_cmp_gt_i32 s27, s26
	s_cbranch_scc1 .LBB2_6
; %bb.5:
	s_mul_i32 s2, s25, s27
	s_ashr_i32 s0, s28, 3
	s_cbranch_execz .LBB2_7
	s_branch .LBB2_8
.LBB2_6:
                                        ; implicit-def: $sgpr2
	s_ashr_i32 s0, s28, 3
.LBB2_7:
	s_add_i32 s1, s25, -1
	s_mul_i32 s1, s1, s27
	s_add_i32 s2, s26, s1
.LBB2_8:
	s_abs_i32 s1, s21
	v_cvt_f32_u32_e32 v1, s1
	s_sub_i32 s26, 0, s1
	s_add_i32 s0, s2, s0
	s_abs_i32 s25, s0
	v_rcp_iflag_f32_e32 v1, v1
	s_xor_b32 s2, s0, s21
	s_ashr_i32 s2, s2, 31
	v_mul_f32_e32 v1, 0x4f7ffffe, v1
	v_cvt_u32_f32_e32 v1, v1
	s_nop 0
	v_readfirstlane_b32 s27, v1
	s_mul_i32 s26, s26, s27
	s_mul_hi_u32 s26, s27, s26
	s_add_i32 s27, s27, s26
	s_mul_hi_u32 s26, s25, s27
	s_mul_i32 s27, s26, s1
	s_sub_i32 s25, s25, s27
	s_add_i32 s28, s26, 1
	s_sub_i32 s27, s25, s1
	s_cmp_ge_u32 s25, s1
	s_cselect_b32 s26, s28, s26
	s_cselect_b32 s25, s27, s25
	s_add_i32 s27, s26, 1
	s_cmp_ge_u32 s25, s1
	s_cselect_b32 s1, s27, s26
	s_xor_b32 s1, s1, s2
	s_lshr_b32 s25, s24, 30
	s_sub_i32 s1, s1, s2
	s_add_i32 s25, s24, s25
	s_mul_i32 s2, s1, s21
	s_sub_i32 s0, s0, s2
	s_and_b32 s2, s25, -4
	s_sub_i32 s24, s24, s2
	s_cmp_ge_i32 s1, s2
	s_cselect_b32 s2, s24, 4
	s_abs_i32 s25, s2
	v_cvt_f32_u32_e32 v1, s25
	s_ashr_i32 s24, s1, 31
	s_lshr_b32 s24, s24, 30
	s_add_i32 s24, s1, s24
	v_rcp_iflag_f32_e32 v1, v1
	s_and_b32 s24, s24, -4
	s_sub_i32 s24, s1, s24
	s_sub_i32 s27, 0, s25
	v_mul_f32_e32 v1, 0x4f7ffffe, v1
	v_cvt_u32_f32_e32 v1, v1
	s_mul_i32 s21, s24, s21
	s_add_i32 s21, s21, s0
	s_abs_i32 s26, s21
	v_readfirstlane_b32 s28, v1
	s_mul_i32 s27, s27, s28
	s_mul_hi_u32 s27, s28, s27
	s_add_i32 s28, s28, s27
	s_mul_hi_u32 s27, s26, s28
	s_mul_i32 s28, s27, s25
	s_xor_b32 s0, s21, s2
	s_sub_i32 s26, s26, s28
	s_ashr_i32 s0, s0, 31
	s_add_i32 s28, s27, 1
	s_sub_i32 s29, s26, s25
	s_cmp_ge_u32 s26, s25
	s_cselect_b32 s27, s28, s27
	s_cselect_b32 s26, s29, s26
	s_add_i32 s28, s27, 1
	s_cmp_ge_u32 s26, s25
	s_cselect_b32 s25, s28, s27
	s_xor_b32 s25, s25, s0
	s_sub_i32 s0, s25, s0
	s_mul_i32 s2, s0, s2
	s_sub_i32 s2, s21, s2
	s_add_i32 s2, s2, s1
	s_sub_i32 s2, s2, s24
.LBB2_9:
	s_mov_b32 s21, s2
	s_mov_b32 s2, s0
.LBB2_10:
	s_waitcnt lgkmcnt(0)
	s_mul_i32 s0, s23, s3
	s_ashr_i32 s1, s0, 31
	s_lshl_b64 s[24:25], s[0:1], 1
	s_add_u32 s0, s12, s24
	s_addc_u32 s1, s13, s25
	s_add_u32 s12, s14, s24
	s_addc_u32 s13, s15, s25
	s_add_i32 s10, s10, -1
	s_mul_i32 s24, s10, s23
	s_add_i32 s15, s5, 0x7fffffff
	s_sub_i32 s6, s6, s24
	s_cmp_lt_u32 s3, s10
	v_lshrrev_b32_e32 v99, 1, v0
	s_cselect_b32 s10, s23, s6
	s_lshl_b32 s6, s2, 7
	v_and_b32_e32 v1, 0x7c, v99
	v_and_b32_e32 v98, 7, v0
	v_lshl_or_b32 v100, s21, 7, v1
	v_or_b32_e32 v103, s6, v1
	v_lshrrev_b32_e32 v164, 2, v0
	s_ashr_i32 s2, s22, 31
	v_lshlrev_b32_e32 v2, 3, v98
	v_mul_lo_u32 v101, v100, s7
	v_bitop3_b32 v102, v99, v98, 4 bitop3:0x6c
	v_lshlrev_b32_e32 v4, 6, v1
	v_mul_lo_u32 v104, v103, s8
	v_and_b32_e32 v162, 15, v0
	v_lshrrev_b32_e32 v1, 3, v0
	v_and_b32_e32 v163, 16, v164
	s_lshr_b32 s2, s2, 29
	s_mul_i32 s14, s11, s7
	s_mul_i32 s15, s15, s8
	v_add_u32_e32 v3, v101, v2
	v_and_b32_e32 v38, 4, v99
	v_lshl_or_b32 v39, v102, 3, v4
	v_add_u32_e32 v18, v104, v2
	v_and_or_b32 v40, v1, 16, v162
	v_and_b32_e32 v105, 6, v1
	v_bitop3_b32 v106, v1, v98, 6 bitop3:0x6c
	v_or_b32_e32 v54, v163, v162
	s_add_i32 s22, s22, s2
	s_ashr_i32 s22, s22, 3
	; sched_barrier mask(0x00000000)
	s_add_i32 s2, s10, s14
	s_lshl_b32 s2, s2, 1
	s_and_b32 s1, s1, 0xffff
	s_mov_b32 s3, 0x20000
	v_lshlrev_b32_e32 v10, 1, v3
	v_add_u32_e32 v11, s7, v3
	v_lshlrev_b32_e32 v12, 1, v11
	buffer_load_dwordx4 v[2:5], v10, s[0:3], 0 offen
	buffer_load_dwordx4 v[6:9], v12, s[0:3], 0 offen
	v_add_u32_e32 v10, s7, v11
	v_add_u32_e32 v34, s7, v10
	s_add_i32 s10, s10, s15
	v_lshlrev_b32_e32 v19, 1, v10
	v_lshlrev_b32_e32 v20, 1, v34
	s_lshl_b32 s14, s10, 1
	s_and_b32 s13, s13, 0xffff
	s_mov_b32 s15, s3
	v_lshlrev_b32_e32 v26, 1, v18
	v_add_u32_e32 v27, s8, v18
	buffer_load_dwordx4 v[10:13], v19, s[0:3], 0 offen
	buffer_load_dwordx4 v[14:17], v20, s[0:3], 0 offen
	v_lshlrev_b32_e32 v28, 1, v27
	buffer_load_dwordx4 v[18:21], v26, s[12:15], 0 offen
	buffer_load_dwordx4 v[22:25], v28, s[12:15], 0 offen
	v_add_u32_e32 v26, s8, v27
	v_lshlrev_b32_e32 v35, 1, v26
	v_add_u32_e32 v36, s8, v26
	v_lshlrev_b32_e32 v37, 1, v36
	buffer_load_dwordx4 v[26:29], v35, s[12:15], 0 offen
	buffer_load_dwordx4 v[30:33], v37, s[12:15], 0 offen
	s_mul_i32 s10, s7, -3
	v_add3_u32 v34, s10, 64, v34
	s_mul_i32 s10, s8, -3
	v_add3_u32 v41, s10, 64, v36
	v_lshlrev_b32_e32 v42, 1, v34
	v_add_u32_e32 v43, s7, v34
	v_lshlrev_b32_e32 v44, 1, v43
	buffer_load_dwordx4 v[78:81], v42, s[0:3], 0 offen
	buffer_load_dwordx4 v[34:37], v44, s[0:3], 0 offen
	v_add_u32_e32 v42, s7, v43
	v_lshlrev_b32_e32 v55, 1, v41
	v_add_u32_e32 v41, s8, v41
	v_lshlrev_b32_e32 v50, 1, v42
	v_add_lshl_u32 v51, v42, s7, 1
	v_lshlrev_b32_e32 v56, 1, v41
	v_add_u32_e32 v41, s8, v41
	buffer_load_dwordx4 v[46:49], v50, s[0:3], 0 offen
	buffer_load_dwordx4 v[42:45], v51, s[0:3], 0 offen
	;; [unrolled: 1-line block ×3, first 2 shown]
	s_nop 0
	buffer_load_dwordx4 v[50:53], v56, s[12:15], 0 offen
	v_lshlrev_b32_e32 v55, 1, v41
	v_add_lshl_u32 v41, v41, s8, 1
	buffer_load_dwordx4 v[70:73], v55, s[12:15], 0 offen
	buffer_load_dwordx4 v[62:65], v41, s[12:15], 0 offen
	v_bitop3_b32 v55, v38, v98, 1 bitop3:0x36
	v_bitop3_b32 v107, v38, v98, 2 bitop3:0x36
	v_lshlrev_b32_e32 v41, 1, v39
	v_bitop3_b32 v108, v38, v98, 3 bitop3:0x36
	v_sub_u32_e32 v38, v55, v102
	v_sub_u32_e32 v55, v107, v55
	;; [unrolled: 1-line block ×3, first 2 shown]
	v_lshlrev_b32_e32 v165, 3, v38
	v_lshl_add_u32 v38, v38, 4, v41
	v_lshlrev_b32_e32 v109, 3, v55
	v_lshlrev_b32_e32 v55, 4, v55
	;; [unrolled: 1-line block ×4, first 2 shown]
	v_add3_u32 v55, v38, s20, v55
	v_add3_u32 v57, v55, s20, v57
	v_lshlrev_b32_e32 v56, 4, v106
	v_add_u32_e32 v166, 64, v109
	v_lshl_or_b32 v167, v40, 7, v56
	v_lshl_or_b32 v168, v54, 7, v56
	v_add_u32_e32 v110, v165, v166
	v_add3_u32 v111, v110, v39, v66
	s_movk_i32 s15, 0xffc0
	s_waitcnt vmcnt(15)
	ds_write_b128 v41, v[2:5]
	s_waitcnt vmcnt(14)
	ds_write_b128 v38, v[6:9] offset:128
	s_waitcnt vmcnt(13)
	ds_write_b128 v55, v[10:13] offset:128
	s_waitcnt vmcnt(12)
	ds_write_b128 v57, v[14:17] offset:128
	s_waitcnt vmcnt(11)
	ds_write_b128 v41, v[18:21] offset:16384
	s_waitcnt vmcnt(10)
	ds_write_b128 v38, v[22:25] offset:16512
	s_waitcnt vmcnt(9)
	ds_write_b128 v55, v[26:29] offset:16512
	s_waitcnt vmcnt(8)
	ds_write_b128 v57, v[30:33] offset:16512
	v_bitop3_b32 v2, v105, v98, 1 bitop3:0x36
	v_sub_u32_e32 v2, v2, v106
	v_lshlrev_b32_e32 v6, 4, v2
	v_add_u32_e32 v169, v167, v6
	v_add_u32_e32 v170, v168, v6
	s_waitcnt lgkmcnt(0)
	s_barrier
	ds_read_b128 v[94:97], v167
	ds_read_b128 v[90:93], v167 offset:4096
	ds_read_b128 v[86:89], v167 offset:8192
	;; [unrolled: 1-line block ×7, first 2 shown]
	ds_read_b128 v[30:33], v169
	ds_read_b128 v[26:29], v169 offset:4096
	ds_read_b128 v[22:25], v169 offset:8192
	;; [unrolled: 1-line block ×7, first 2 shown]
	v_sub_u32_e32 v105, v102, v108
	v_lshlrev_b32_e32 v105, 3, v105
	v_add3_u32 v171, v111, v105, s15
	; sched_barrier mask(0x00000000)
	v_or_b32_e32 v99, 3, v99
	v_bitop3_b32 v99, v99, 7, v0 bitop3:0x48
	v_sub_u32_e32 v105, v99, v107
	v_lshlrev_b32_e32 v105, 3, v105
	v_add_u32_e32 v172, 64, v105
	v_sub_u32_e32 v99, v102, v99
	s_max_i32 s15, s22, 2
	v_lshlrev_b32_e32 v99, 3, v99
	v_add_u32_e32 v102, v110, v172
	s_movk_i32 s22, 0xff80
	v_lshlrev_b32_e32 v174, 4, v98
	v_or_b32_e32 v98, 3, v103
	v_add3_u32 v173, v102, v99, s22
	v_mul_lo_u32 v98, s8, v98
	v_mov_b32_e32 v99, 0x100
	v_lshl_add_u32 v175, v98, 1, v99
	v_or_b32_e32 v98, 2, v103
	v_mul_lo_u32 v98, s8, v98
	v_lshl_add_u32 v176, v98, 1, v99
	v_add_u32_e32 v98, s8, v104
	v_lshl_add_u32 v177, v98, 1, v99
	v_or_b32_e32 v98, 3, v100
	v_mul_lo_u32 v98, s7, v98
	v_lshl_add_u32 v179, v98, 1, v99
	v_or_b32_e32 v98, 2, v100
	v_mul_lo_u32 v98, s7, v98
	v_lshl_add_u32 v180, v98, 1, v99
	v_add_u32_e32 v98, s7, v101
	v_lshl_add_u32 v181, v98, 1, v99
	v_mov_b32_e32 v98, 0
	v_lshl_add_u32 v178, v104, 1, v99
	v_lshl_add_u32 v182, v101, 1, v99
	s_add_i32 s7, s15, -1
	v_lshlrev_b32_e32 v183, 1, v109
	v_lshlrev_b32_e32 v184, 1, v105
	s_mov_b32 s15, s3
	v_mov_b32_e32 v99, v98
	v_mov_b32_e32 v100, v98
	;; [unrolled: 1-line block ×63, first 2 shown]
.LBB2_11:                               ; =>This Inner Loop Header: Depth=1
	v_lshlrev_b32_e32 v185, 1, v171
	s_waitcnt lgkmcnt(0)
	s_barrier
	s_waitcnt vmcnt(7)
	ds_write_b128 v185, v[78:81]
	v_add_u32_e32 v78, v174, v182
	v_lshl_add_u32 v186, v165, 1, v185
	v_mfma_f32_16x16x32_bf16 v[158:161], v[94:97], v[82:85], v[158:161]
	buffer_load_dwordx4 v[78:81], v78, s[0:3], 0 offen
	v_add_u32_e32 v171, v171, v173
	; sched_group_barrier mask(0x00000200) size(1) SyncID(0)
	; sched_group_barrier mask(0x00000008) size(1) SyncID(0)
	;; [unrolled: 1-line block ×3, first 2 shown]
	v_mfma_f32_16x16x32_bf16 v[154:157], v[94:97], v[74:77], v[154:157]
	s_waitcnt vmcnt(7)
	ds_write_b128 v186, v[34:37] offset:128
	v_add_u32_e32 v34, v174, v181
	; sched_group_barrier mask(0x00000008) size(1) SyncID(0)
	; sched_group_barrier mask(0x00000200) size(1) SyncID(0)
	v_mfma_f32_16x16x32_bf16 v[150:153], v[94:97], v[66:69], v[150:153]
	buffer_load_dwordx4 v[34:37], v34, s[0:3], 0 offen
	; sched_group_barrier mask(0x00000008) size(1) SyncID(0)
	; sched_group_barrier mask(0x00000020) size(1) SyncID(0)
	v_mfma_f32_16x16x32_bf16 v[146:149], v[94:97], v[54:57], v[146:149]
	v_add3_u32 v94, v186, s20, v183
	s_waitcnt vmcnt(7)
	ds_write_b128 v94, v[46:49] offset:128
	v_add_u32_e32 v46, v174, v180
	v_add3_u32 v94, v94, s20, v184
	v_mfma_f32_16x16x32_bf16 v[142:145], v[90:93], v[82:85], v[142:145]
	buffer_load_dwordx4 v[46:49], v46, s[0:3], 0 offen
	; sched_group_barrier mask(0x00000008) size(1) SyncID(0)
	; sched_group_barrier mask(0x00000200) size(1) SyncID(0)
	;; [unrolled: 1-line block ×4, first 2 shown]
	v_mfma_f32_16x16x32_bf16 v[138:141], v[90:93], v[74:77], v[138:141]
	s_waitcnt vmcnt(7)
	ds_write_b128 v94, v[42:45] offset:128
	v_add_u32_e32 v42, v174, v179
	; sched_group_barrier mask(0x00000008) size(1) SyncID(0)
	; sched_group_barrier mask(0x00000200) size(1) SyncID(0)
	v_mfma_f32_16x16x32_bf16 v[134:137], v[90:93], v[66:69], v[134:137]
	buffer_load_dwordx4 v[42:45], v42, s[0:3], 0 offen
	; sched_group_barrier mask(0x00000008) size(1) SyncID(0)
	; sched_group_barrier mask(0x00000020) size(1) SyncID(0)
	v_mfma_f32_16x16x32_bf16 v[130:133], v[90:93], v[54:57], v[130:133]
	s_waitcnt vmcnt(7)
	ds_write_b128 v185, v[58:61] offset:16384
	v_add_u32_e32 v58, v174, v178
	; sched_group_barrier mask(0x00000008) size(1) SyncID(0)
	; sched_group_barrier mask(0x00000200) size(1) SyncID(0)
	v_mfma_f32_16x16x32_bf16 v[126:129], v[86:89], v[82:85], v[126:129]
	buffer_load_dwordx4 v[58:61], v58, s[12:15], 0 offen
	; sched_group_barrier mask(0x00000008) size(1) SyncID(0)
	; sched_group_barrier mask(0x00000020) size(1) SyncID(0)
	;; [unrolled: 10-line block ×3, first 2 shown]
	v_mfma_f32_16x16x32_bf16 v[114:117], v[86:89], v[54:57], v[114:117]
	v_lshl_add_u32 v86, v166, 1, v186
	s_waitcnt vmcnt(7)
	ds_write_b128 v86, v[70:73] offset:16512
	v_add_u32_e32 v70, v174, v176
	v_mfma_f32_16x16x32_bf16 v[110:113], v[38:41], v[82:85], v[110:113]
	buffer_load_dwordx4 v[70:73], v70, s[12:15], 0 offen
	; sched_group_barrier mask(0x00000008) size(1) SyncID(0)
	; sched_group_barrier mask(0x00000200) size(1) SyncID(0)
	;; [unrolled: 1-line block ×4, first 2 shown]
	v_mfma_f32_16x16x32_bf16 v[106:109], v[38:41], v[74:77], v[106:109]
	v_add_u32_e32 v74, v174, v175
	v_lshl_add_u32 v75, v172, 1, v86
	s_waitcnt vmcnt(7)
	ds_write_b128 v75, v[62:65] offset:16512
	v_mfma_f32_16x16x32_bf16 v[102:105], v[38:41], v[66:69], v[102:105]
	buffer_load_dwordx4 v[62:65], v74, s[12:15], 0 offen
	s_waitcnt lgkmcnt(0)
	s_barrier
	v_mfma_f32_16x16x32_bf16 v[98:101], v[38:41], v[54:57], v[98:101]
	ds_read_b128 v[94:97], v167
	; sched_group_barrier mask(0x00000008) size(1) SyncID(0)
	; sched_group_barrier mask(0x00000200) size(1) SyncID(0)
	;; [unrolled: 1-line block ×6, first 2 shown]
	v_mfma_f32_16x16x32_bf16 v[158:161], v[30:33], v[18:21], v[158:161]
	ds_read_b128 v[90:93], v167 offset:4096
	; sched_group_barrier mask(0x00000008) size(1) SyncID(0)
	; sched_group_barrier mask(0x00000100) size(1) SyncID(0)
	v_mfma_f32_16x16x32_bf16 v[154:157], v[30:33], v[14:17], v[154:157]
	ds_read_b128 v[86:89], v167 offset:8192
	; sched_group_barrier mask(0x00000008) size(1) SyncID(0)
	; sched_group_barrier mask(0x00000100) size(1) SyncID(0)
	;; [unrolled: 4-line block ×7, first 2 shown]
	v_mfma_f32_16x16x32_bf16 v[130:133], v[26:29], v[10:13], v[130:133]
	ds_read_b128 v[30:33], v169
	; sched_group_barrier mask(0x00000008) size(1) SyncID(0)
	; sched_group_barrier mask(0x00000100) size(1) SyncID(0)
	v_mfma_f32_16x16x32_bf16 v[126:129], v[22:25], v[18:21], v[126:129]
	ds_read_b128 v[26:29], v169 offset:4096
	; sched_group_barrier mask(0x00000008) size(1) SyncID(0)
	; sched_group_barrier mask(0x00000100) size(1) SyncID(0)
	v_mfma_f32_16x16x32_bf16 v[122:125], v[22:25], v[14:17], v[122:125]
	; sched_group_barrier mask(0x00000008) size(1) SyncID(0)
	v_mfma_f32_16x16x32_bf16 v[98:101], v[2:5], v[10:13], v[98:101]
	v_mfma_f32_16x16x32_bf16 v[102:105], v[2:5], v[6:9], v[102:105]
	;; [unrolled: 1-line block ×4, first 2 shown]
	ds_read_b128 v[2:5], v169 offset:12288
	; sched_group_barrier mask(0x00000100) size(1) SyncID(0)
	v_mfma_f32_16x16x32_bf16 v[114:117], v[22:25], v[10:13], v[114:117]
	ds_read_b128 v[14:17], v170 offset:20480
	ds_read_b128 v[10:13], v170 offset:28672
	; sched_group_barrier mask(0x00000008) size(1) SyncID(0)
	; sched_group_barrier mask(0x00000100) size(1) SyncID(0)
	;; [unrolled: 1-line block ×4, first 2 shown]
	v_mfma_f32_16x16x32_bf16 v[118:121], v[22:25], v[6:9], v[118:121]
	ds_read_b128 v[22:25], v169 offset:8192
	ds_read_b128 v[6:9], v170 offset:24576
	;; [unrolled: 1-line block ×3, first 2 shown]
	; sched_group_barrier mask(0x00000008) size(1) SyncID(0)
	; sched_group_barrier mask(0x00000100) size(1) SyncID(0)
	;; [unrolled: 1-line block ×7, first 2 shown]
	; sched_barrier mask(0x00000000)
	s_add_i32 s7, s7, -1
	v_add_u32_e32 v175, 0x80, v175
	v_add_u32_e32 v176, 0x80, v176
	;; [unrolled: 1-line block ×7, first 2 shown]
	s_cmp_lg_u32 s7, 0
	v_add_u32_e32 v182, 0x80, v182
	s_cbranch_scc1 .LBB2_11
; %bb.12:
	s_waitcnt vmcnt(6) lgkmcnt(11)
	v_mfma_f32_16x16x32_bf16 v[34:37], v[94:97], v[82:85], v[158:161]
	s_lshl_b64 s[0:1], s[18:19], 1
	s_waitcnt vmcnt(5)
	v_and_b32_e32 v46, 12, v164
	v_lshlrev_b32_e32 v0, 3, v0
	s_waitcnt lgkmcnt(0)
	v_mfma_f32_16x16x32_bf16 v[34:37], v[30:33], v[18:21], v[34:37]
	s_add_u32 s12, s16, s0
	s_waitcnt vmcnt(0)
	v_and_or_b32 v62, v1, 16, v46
	s_addc_u32 s7, s17, s1
	v_mfma_f32_16x16x32_bf16 v[46:49], v[94:97], v[66:69], v[150:153]
	s_mul_i32 s0, s11, s9
	s_mul_hi_u32 s1, 0, s9
	v_lshlrev_b32_e32 v63, 1, v162
	v_and_b32_e32 v150, 56, v0
	v_or_b32_e32 v0, s6, v150
	v_mfma_f32_16x16x32_bf16 v[50:53], v[94:97], v[54:57], v[146:149]
	s_add_i32 s8, s1, s0
	v_lshl_or_b32 v62, v62, 7, v63
	s_waitcnt lgkmcnt(0)
	v_lshl_or_b32 v148, s21, 7, v1
	v_mfma_f32_16x16x32_bf16 v[42:45], v[94:97], v[74:77], v[154:157]
	v_mad_u64_u32 v[146:147], s[0:1], v148, s9, v[0:1]
	s_barrier
	s_nop 0
	v_cvt_pk_bf16_f32 v34, v34, s0
	v_mfma_f32_16x16x32_bf16 v[58:61], v[90:93], v[82:85], v[142:145]
	v_cvt_pk_bf16_f32 v78, v37, s0
	v_lshlrev_b32_e32 v94, 1, v150
	v_cmp_gt_i32_e32 vcc, s5, v0
	v_lshl_add_u32 v142, v163, 1, v62
	ds_write_b16 v142, v34
	v_cvt_pk_bf16_f32 v34, v35, s0
	ds_write_b16 v142, v34 offset:128
	v_cvt_pk_bf16_f32 v34, v36, s0
	ds_write_b16 v142, v34 offset:256
	v_mfma_f32_16x16x32_bf16 v[34:37], v[30:33], v[14:17], v[42:45]
	ds_write_b16 v142, v78 offset:384
	v_cmp_gt_i32_e64 s[2:3], s4, v148
	s_and_b32 s13, s7, 0xffff
	v_mfma_f32_16x16x32_bf16 v[62:65], v[90:93], v[74:77], v[138:141]
	s_mov_b32 s15, 0x20000
	s_nop 2
	v_cvt_pk_bf16_f32 v37, v37, s0
	v_cvt_pk_bf16_f32 v36, v36, s0
	v_mfma_f32_16x16x32_bf16 v[70:73], v[90:93], v[66:69], v[134:137]
	v_cvt_pk_bf16_f32 v35, v35, s0
	v_cvt_pk_bf16_f32 v34, v34, s0
	ds_write_b16 v142, v37 offset:448
	v_mfma_f32_16x16x32_bf16 v[42:45], v[90:93], v[54:57], v[130:133]
	ds_write_b16 v142, v36 offset:320
	ds_write_b16 v142, v35 offset:192
	;; [unrolled: 1-line block ×3, first 2 shown]
	v_mfma_f32_16x16x32_bf16 v[90:93], v[86:89], v[66:69], v[118:121]
	s_waitcnt lgkmcnt(0)
	s_barrier
	s_add_i32 s0, s5, s8
	v_lshl_or_b32 v118, v1, 7, v94
	ds_read_b128 v[94:97], v118
	v_mfma_f32_16x16x32_bf16 v[46:49], v[30:33], v[6:9], v[46:49]
	s_lshl_b32 s14, s0, 1
	s_and_b64 s[0:1], s[2:3], vcc
	v_or_b32_e32 v0, 64, v0
	v_mfma_f32_16x16x32_bf16 v[78:81], v[86:89], v[82:85], v[126:129]
	v_mfma_f32_16x16x32_bf16 v[82:85], v[38:41], v[82:85], v[110:113]
	s_nop 2
	v_cvt_pk_bf16_f32 v46, v46, s0
	v_bfrev_b32_e32 v110, 1
	v_mfma_f32_16x16x32_bf16 v[30:33], v[30:33], v[10:13], v[50:53]
	v_cndmask_b32_e64 v1, v110, 0, s[0:1]
	v_lshl_add_u32 v1, v146, 1, v1
	s_waitcnt lgkmcnt(0)
	buffer_store_dwordx4 v[94:97], v1, s[12:15], 0 offen
	s_waitcnt lgkmcnt(0)
	s_barrier
	ds_write_b16 v142, v46
	v_cvt_pk_bf16_f32 v46, v47, s0
	ds_write_b16 v142, v46 offset:128
	v_cvt_pk_bf16_f32 v46, v48, s0
	v_cvt_pk_bf16_f32 v50, v49, s0
	;; [unrolled: 1-line block ×6, first 2 shown]
	ds_write_b16 v142, v46 offset:256
	ds_write_b16 v142, v50 offset:384
	;; [unrolled: 1-line block ×6, first 2 shown]
	s_waitcnt lgkmcnt(0)
	s_barrier
	ds_read_b128 v[30:33], v118
	v_mfma_f32_16x16x32_bf16 v[34:37], v[86:89], v[74:77], v[122:125]
	v_cmp_gt_i32_e64 s[0:1], s5, v0
	s_and_b64 s[2:3], s[2:3], s[0:1]
	v_add_u32_e32 v1, 64, v146
	v_mfma_f32_16x16x32_bf16 v[86:89], v[86:89], v[54:57], v[114:117]
	v_cndmask_b32_e64 v0, v110, 0, s[2:3]
	v_lshl_add_u32 v0, v1, 1, v0
	s_waitcnt lgkmcnt(0)
	buffer_store_dwordx4 v[30:33], v0, s[12:15], 0 offen
	v_mfma_f32_16x16x32_bf16 v[74:77], v[38:41], v[74:77], v[106:109]
	s_waitcnt lgkmcnt(0)
	s_barrier
	s_lshl_b32 s5, s9, 5
	v_mfma_f32_16x16x32_bf16 v[66:69], v[38:41], v[66:69], v[102:105]
	v_mfma_f32_16x16x32_bf16 v[38:41], v[38:41], v[54:57], v[98:101]
	;; [unrolled: 1-line block ×5, first 2 shown]
	s_nop 5
	v_cvt_pk_bf16_f32 v0, v54, s0
	ds_write_b16 v142, v0
	v_cvt_pk_bf16_f32 v0, v55, s0
	v_mfma_f32_16x16x32_bf16 v[26:29], v[26:29], v[10:13], v[42:45]
	ds_write_b16 v142, v0 offset:128
	v_cvt_pk_bf16_f32 v0, v56, s0
	ds_write_b16 v142, v0 offset:256
	v_cvt_pk_bf16_f32 v0, v57, s0
	ds_write_b16 v142, v0 offset:384
	s_nop 2
	v_cvt_pk_bf16_f32 v0, v29, s0
	v_mfma_f32_16x16x32_bf16 v[42:45], v[22:25], v[18:21], v[78:81]
	v_add_u32_e32 v59, s5, v1
	ds_write_b16 v142, v0 offset:448
	v_cvt_pk_bf16_f32 v28, v28, s0
	v_mfma_f32_16x16x32_bf16 v[34:37], v[22:25], v[14:17], v[34:37]
	v_or_b32_e32 v58, 32, v148
	ds_write_b16 v142, v28 offset:320
	v_cmp_gt_i32_e64 s[2:3], s4, v58
	v_mfma_f32_16x16x32_bf16 v[30:33], v[22:25], v[6:9], v[90:93]
	s_and_b64 s[6:7], s[2:3], s[0:1]
	s_and_b64 s[2:3], vcc, s[2:3]
	v_mfma_f32_16x16x32_bf16 v[18:21], v[2:5], v[18:21], v[82:85]
	v_mfma_f32_16x16x32_bf16 v[14:17], v[2:5], v[14:17], v[74:77]
	v_mfma_f32_16x16x32_bf16 v[6:9], v[2:5], v[6:9], v[66:69]
	v_mfma_f32_16x16x32_bf16 v[0:3], v[2:5], v[10:13], v[38:41]
	v_cvt_pk_bf16_f32 v4, v27, s0
	ds_write_b16 v142, v4 offset:192
	v_cvt_pk_bf16_f32 v4, v26, s0
	v_mfma_f32_16x16x32_bf16 v[22:25], v[22:25], v[10:13], v[86:89]
	ds_write_b16 v142, v4 offset:64
	s_waitcnt lgkmcnt(0)
	s_barrier
	ds_read_b128 v[10:13], v118
	v_cndmask_b32_e64 v4, v110, 0, s[6:7]
	v_lshl_add_u32 v4, v59, 1, v4
	v_cndmask_b32_e64 v5, v110, 0, s[2:3]
	v_cvt_pk_bf16_f32 v6, v6, s0
	s_waitcnt lgkmcnt(0)
	buffer_store_dwordx4 v[10:13], v4, s[12:15], 0 offen
	v_cvt_pk_bf16_f32 v4, v46, s0
	s_waitcnt lgkmcnt(0)
	s_barrier
	ds_write_b16 v142, v4
	v_cvt_pk_bf16_f32 v4, v47, s0
	ds_write_b16 v142, v4 offset:128
	v_cvt_pk_bf16_f32 v4, v48, s0
	ds_write_b16 v142, v4 offset:256
	;; [unrolled: 2-line block ×7, first 2 shown]
	s_waitcnt lgkmcnt(0)
	s_barrier
	ds_read_b128 v[10:13], v118
	v_add_u32_e32 v4, s5, v146
	v_lshl_add_u32 v5, v4, 1, v5
	v_add_u32_e32 v4, s5, v4
	v_cvt_pk_bf16_f32 v3, v3, s0
	s_waitcnt lgkmcnt(0)
	buffer_store_dwordx4 v[10:13], v5, s[12:15], 0 offen
	s_waitcnt lgkmcnt(0)
	s_barrier
	v_cvt_pk_bf16_f32 v10, v42, s0
	ds_write_b16 v142, v10
	v_cvt_pk_bf16_f32 v10, v43, s0
	ds_write_b16 v142, v10 offset:128
	v_cvt_pk_bf16_f32 v10, v44, s0
	ds_write_b16 v142, v10 offset:256
	;; [unrolled: 2-line block ×6, first 2 shown]
	v_cvt_pk_bf16_f32 v10, v34, s0
	v_or_b32_e32 v5, 64, v148
	ds_write_b16 v142, v10 offset:64
	s_waitcnt lgkmcnt(0)
	s_barrier
	ds_read_b128 v[10:13], v118
	v_cmp_gt_i32_e64 s[2:3], s4, v5
	s_and_b64 s[6:7], vcc, s[2:3]
	v_cndmask_b32_e64 v5, v110, 0, s[6:7]
	v_lshl_add_u32 v5, v4, 1, v5
	s_waitcnt lgkmcnt(0)
	buffer_store_dwordx4 v[10:13], v5, s[12:15], 0 offen
	v_cvt_pk_bf16_f32 v5, v30, s0
	s_waitcnt lgkmcnt(0)
	s_barrier
	ds_write_b16 v142, v5
	v_cvt_pk_bf16_f32 v5, v31, s0
	ds_write_b16 v142, v5 offset:128
	v_cvt_pk_bf16_f32 v5, v32, s0
	ds_write_b16 v142, v5 offset:256
	;; [unrolled: 2-line block ×7, first 2 shown]
	s_waitcnt lgkmcnt(0)
	s_barrier
	ds_read_b128 v[10:13], v118
	s_and_b64 s[2:3], s[2:3], s[0:1]
	v_add_u32_e32 v5, 64, v4
	v_cndmask_b32_e64 v22, v110, 0, s[2:3]
	v_lshl_add_u32 v22, v5, 1, v22
	s_waitcnt lgkmcnt(0)
	buffer_store_dwordx4 v[10:13], v22, s[12:15], 0 offen
	s_waitcnt lgkmcnt(0)
	s_barrier
	ds_write_b16 v142, v6
	v_cvt_pk_bf16_f32 v6, v7, s0
	ds_write_b16 v142, v6 offset:128
	v_cvt_pk_bf16_f32 v6, v8, s0
	ds_write_b16 v142, v6 offset:256
	v_cvt_pk_bf16_f32 v6, v9, s0
	v_cvt_pk_bf16_f32 v2, v2, s0
	;; [unrolled: 1-line block ×4, first 2 shown]
	v_or_b32_e32 v10, 0x60, v148
	ds_write_b16 v142, v6 offset:384
	ds_write_b16 v142, v3 offset:448
	;; [unrolled: 1-line block ×5, first 2 shown]
	s_waitcnt lgkmcnt(0)
	s_barrier
	ds_read_b128 v[0:3], v118
	v_cmp_gt_i32_e64 s[2:3], s4, v10
	s_and_b64 s[0:1], s[2:3], s[0:1]
	v_add_u32_e32 v5, s5, v5
	v_cndmask_b32_e64 v6, v110, 0, s[0:1]
	v_lshl_add_u32 v5, v5, 1, v6
	s_waitcnt lgkmcnt(0)
	buffer_store_dwordx4 v[0:3], v5, s[12:15], 0 offen
	s_waitcnt lgkmcnt(0)
	s_barrier
	v_cvt_pk_bf16_f32 v0, v18, s0
	ds_write_b16 v142, v0
	v_cvt_pk_bf16_f32 v0, v19, s0
	ds_write_b16 v142, v0 offset:128
	v_cvt_pk_bf16_f32 v0, v20, s0
	ds_write_b16 v142, v0 offset:256
	;; [unrolled: 2-line block ×7, first 2 shown]
	s_waitcnt lgkmcnt(0)
	s_barrier
	ds_read_b128 v[0:3], v118
	s_and_b64 s[0:1], vcc, s[2:3]
	v_add_u32_e32 v4, s5, v4
	v_cndmask_b32_e64 v5, v110, 0, s[0:1]
	v_lshl_add_u32 v4, v4, 1, v5
	s_waitcnt lgkmcnt(0)
	buffer_store_dwordx4 v[0:3], v4, s[12:15], 0 offen
	s_endpgm
	.section	.rodata,"a",@progbits
	.p2align	6, 0x0
	.amdhsa_kernel _ZN2ck27kernel_gemm_xdl_cshuffle_v3INS_28GridwiseGemm_xdl_cshuffle_v3INS_13tensor_layout4gemm8RowMajorENS3_11ColumnMajorES4_DF16bDF16bfDF16bDF16bNS_16tensor_operation12element_wise11PassThroughES8_S8_LNS6_6device18GemmSpecializationE0ELi256ELi128ELi128ELi64ELi8ELi8ELi16ELi16ELi4ELi4ENS_8SequenceIJLi8ELi32ELi1EEEENSB_IJLi1ELi0ELi2EEEESD_Li2ELi8ELi8ELb0ELi0ESC_SD_SD_Li2ELi8ELi8ELb0ELi0ELi1ELi2ENSB_IJLi1ELi32ELi1ELi8EEEELi8ELNS_26BlockGemmPipelineSchedulerE0ELNS_24BlockGemmPipelineVersionE2EDF16bDF16bLb0ELb0ELb0ELi0ELb0EEELb1ELNS_25InMemoryDataOperationEnumE0ELi2ELNS_10TailNumberE10EEEvNT_8ArgumentE
		.amdhsa_group_segment_fixed_size 32768
		.amdhsa_private_segment_fixed_size 0
		.amdhsa_kernarg_size 112
		.amdhsa_user_sgpr_count 2
		.amdhsa_user_sgpr_dispatch_ptr 0
		.amdhsa_user_sgpr_queue_ptr 0
		.amdhsa_user_sgpr_kernarg_segment_ptr 1
		.amdhsa_user_sgpr_dispatch_id 0
		.amdhsa_user_sgpr_kernarg_preload_length 0
		.amdhsa_user_sgpr_kernarg_preload_offset 0
		.amdhsa_user_sgpr_private_segment_size 0
		.amdhsa_uses_dynamic_stack 0
		.amdhsa_enable_private_segment 0
		.amdhsa_system_sgpr_workgroup_id_x 1
		.amdhsa_system_sgpr_workgroup_id_y 0
		.amdhsa_system_sgpr_workgroup_id_z 1
		.amdhsa_system_sgpr_workgroup_info 0
		.amdhsa_system_vgpr_workitem_id 0
		.amdhsa_next_free_vgpr 187
		.amdhsa_next_free_sgpr 96
		.amdhsa_accum_offset 188
		.amdhsa_reserve_vcc 1
		.amdhsa_float_round_mode_32 0
		.amdhsa_float_round_mode_16_64 0
		.amdhsa_float_denorm_mode_32 3
		.amdhsa_float_denorm_mode_16_64 3
		.amdhsa_dx10_clamp 1
		.amdhsa_ieee_mode 1
		.amdhsa_fp16_overflow 0
		.amdhsa_tg_split 0
		.amdhsa_exception_fp_ieee_invalid_op 0
		.amdhsa_exception_fp_denorm_src 0
		.amdhsa_exception_fp_ieee_div_zero 0
		.amdhsa_exception_fp_ieee_overflow 0
		.amdhsa_exception_fp_ieee_underflow 0
		.amdhsa_exception_fp_ieee_inexact 0
		.amdhsa_exception_int_div_zero 0
	.end_amdhsa_kernel
	.section	.text._ZN2ck27kernel_gemm_xdl_cshuffle_v3INS_28GridwiseGemm_xdl_cshuffle_v3INS_13tensor_layout4gemm8RowMajorENS3_11ColumnMajorES4_DF16bDF16bfDF16bDF16bNS_16tensor_operation12element_wise11PassThroughES8_S8_LNS6_6device18GemmSpecializationE0ELi256ELi128ELi128ELi64ELi8ELi8ELi16ELi16ELi4ELi4ENS_8SequenceIJLi8ELi32ELi1EEEENSB_IJLi1ELi0ELi2EEEESD_Li2ELi8ELi8ELb0ELi0ESC_SD_SD_Li2ELi8ELi8ELb0ELi0ELi1ELi2ENSB_IJLi1ELi32ELi1ELi8EEEELi8ELNS_26BlockGemmPipelineSchedulerE0ELNS_24BlockGemmPipelineVersionE2EDF16bDF16bLb0ELb0ELb0ELi0ELb0EEELb1ELNS_25InMemoryDataOperationEnumE0ELi2ELNS_10TailNumberE10EEEvNT_8ArgumentE,"axG",@progbits,_ZN2ck27kernel_gemm_xdl_cshuffle_v3INS_28GridwiseGemm_xdl_cshuffle_v3INS_13tensor_layout4gemm8RowMajorENS3_11ColumnMajorES4_DF16bDF16bfDF16bDF16bNS_16tensor_operation12element_wise11PassThroughES8_S8_LNS6_6device18GemmSpecializationE0ELi256ELi128ELi128ELi64ELi8ELi8ELi16ELi16ELi4ELi4ENS_8SequenceIJLi8ELi32ELi1EEEENSB_IJLi1ELi0ELi2EEEESD_Li2ELi8ELi8ELb0ELi0ESC_SD_SD_Li2ELi8ELi8ELb0ELi0ELi1ELi2ENSB_IJLi1ELi32ELi1ELi8EEEELi8ELNS_26BlockGemmPipelineSchedulerE0ELNS_24BlockGemmPipelineVersionE2EDF16bDF16bLb0ELb0ELb0ELi0ELb0EEELb1ELNS_25InMemoryDataOperationEnumE0ELi2ELNS_10TailNumberE10EEEvNT_8ArgumentE,comdat
.Lfunc_end2:
	.size	_ZN2ck27kernel_gemm_xdl_cshuffle_v3INS_28GridwiseGemm_xdl_cshuffle_v3INS_13tensor_layout4gemm8RowMajorENS3_11ColumnMajorES4_DF16bDF16bfDF16bDF16bNS_16tensor_operation12element_wise11PassThroughES8_S8_LNS6_6device18GemmSpecializationE0ELi256ELi128ELi128ELi64ELi8ELi8ELi16ELi16ELi4ELi4ENS_8SequenceIJLi8ELi32ELi1EEEENSB_IJLi1ELi0ELi2EEEESD_Li2ELi8ELi8ELb0ELi0ESC_SD_SD_Li2ELi8ELi8ELb0ELi0ELi1ELi2ENSB_IJLi1ELi32ELi1ELi8EEEELi8ELNS_26BlockGemmPipelineSchedulerE0ELNS_24BlockGemmPipelineVersionE2EDF16bDF16bLb0ELb0ELb0ELi0ELb0EEELb1ELNS_25InMemoryDataOperationEnumE0ELi2ELNS_10TailNumberE10EEEvNT_8ArgumentE, .Lfunc_end2-_ZN2ck27kernel_gemm_xdl_cshuffle_v3INS_28GridwiseGemm_xdl_cshuffle_v3INS_13tensor_layout4gemm8RowMajorENS3_11ColumnMajorES4_DF16bDF16bfDF16bDF16bNS_16tensor_operation12element_wise11PassThroughES8_S8_LNS6_6device18GemmSpecializationE0ELi256ELi128ELi128ELi64ELi8ELi8ELi16ELi16ELi4ELi4ENS_8SequenceIJLi8ELi32ELi1EEEENSB_IJLi1ELi0ELi2EEEESD_Li2ELi8ELi8ELb0ELi0ESC_SD_SD_Li2ELi8ELi8ELb0ELi0ELi1ELi2ENSB_IJLi1ELi32ELi1ELi8EEEELi8ELNS_26BlockGemmPipelineSchedulerE0ELNS_24BlockGemmPipelineVersionE2EDF16bDF16bLb0ELb0ELb0ELi0ELb0EEELb1ELNS_25InMemoryDataOperationEnumE0ELi2ELNS_10TailNumberE10EEEvNT_8ArgumentE
                                        ; -- End function
	.set _ZN2ck27kernel_gemm_xdl_cshuffle_v3INS_28GridwiseGemm_xdl_cshuffle_v3INS_13tensor_layout4gemm8RowMajorENS3_11ColumnMajorES4_DF16bDF16bfDF16bDF16bNS_16tensor_operation12element_wise11PassThroughES8_S8_LNS6_6device18GemmSpecializationE0ELi256ELi128ELi128ELi64ELi8ELi8ELi16ELi16ELi4ELi4ENS_8SequenceIJLi8ELi32ELi1EEEENSB_IJLi1ELi0ELi2EEEESD_Li2ELi8ELi8ELb0ELi0ESC_SD_SD_Li2ELi8ELi8ELb0ELi0ELi1ELi2ENSB_IJLi1ELi32ELi1ELi8EEEELi8ELNS_26BlockGemmPipelineSchedulerE0ELNS_24BlockGemmPipelineVersionE2EDF16bDF16bLb0ELb0ELb0ELi0ELb0EEELb1ELNS_25InMemoryDataOperationEnumE0ELi2ELNS_10TailNumberE10EEEvNT_8ArgumentE.num_vgpr, 187
	.set _ZN2ck27kernel_gemm_xdl_cshuffle_v3INS_28GridwiseGemm_xdl_cshuffle_v3INS_13tensor_layout4gemm8RowMajorENS3_11ColumnMajorES4_DF16bDF16bfDF16bDF16bNS_16tensor_operation12element_wise11PassThroughES8_S8_LNS6_6device18GemmSpecializationE0ELi256ELi128ELi128ELi64ELi8ELi8ELi16ELi16ELi4ELi4ENS_8SequenceIJLi8ELi32ELi1EEEENSB_IJLi1ELi0ELi2EEEESD_Li2ELi8ELi8ELb0ELi0ESC_SD_SD_Li2ELi8ELi8ELb0ELi0ELi1ELi2ENSB_IJLi1ELi32ELi1ELi8EEEELi8ELNS_26BlockGemmPipelineSchedulerE0ELNS_24BlockGemmPipelineVersionE2EDF16bDF16bLb0ELb0ELb0ELi0ELb0EEELb1ELNS_25InMemoryDataOperationEnumE0ELi2ELNS_10TailNumberE10EEEvNT_8ArgumentE.num_agpr, 0
	.set _ZN2ck27kernel_gemm_xdl_cshuffle_v3INS_28GridwiseGemm_xdl_cshuffle_v3INS_13tensor_layout4gemm8RowMajorENS3_11ColumnMajorES4_DF16bDF16bfDF16bDF16bNS_16tensor_operation12element_wise11PassThroughES8_S8_LNS6_6device18GemmSpecializationE0ELi256ELi128ELi128ELi64ELi8ELi8ELi16ELi16ELi4ELi4ENS_8SequenceIJLi8ELi32ELi1EEEENSB_IJLi1ELi0ELi2EEEESD_Li2ELi8ELi8ELb0ELi0ESC_SD_SD_Li2ELi8ELi8ELb0ELi0ELi1ELi2ENSB_IJLi1ELi32ELi1ELi8EEEELi8ELNS_26BlockGemmPipelineSchedulerE0ELNS_24BlockGemmPipelineVersionE2EDF16bDF16bLb0ELb0ELb0ELi0ELb0EEELb1ELNS_25InMemoryDataOperationEnumE0ELi2ELNS_10TailNumberE10EEEvNT_8ArgumentE.numbered_sgpr, 30
	.set _ZN2ck27kernel_gemm_xdl_cshuffle_v3INS_28GridwiseGemm_xdl_cshuffle_v3INS_13tensor_layout4gemm8RowMajorENS3_11ColumnMajorES4_DF16bDF16bfDF16bDF16bNS_16tensor_operation12element_wise11PassThroughES8_S8_LNS6_6device18GemmSpecializationE0ELi256ELi128ELi128ELi64ELi8ELi8ELi16ELi16ELi4ELi4ENS_8SequenceIJLi8ELi32ELi1EEEENSB_IJLi1ELi0ELi2EEEESD_Li2ELi8ELi8ELb0ELi0ESC_SD_SD_Li2ELi8ELi8ELb0ELi0ELi1ELi2ENSB_IJLi1ELi32ELi1ELi8EEEELi8ELNS_26BlockGemmPipelineSchedulerE0ELNS_24BlockGemmPipelineVersionE2EDF16bDF16bLb0ELb0ELb0ELi0ELb0EEELb1ELNS_25InMemoryDataOperationEnumE0ELi2ELNS_10TailNumberE10EEEvNT_8ArgumentE.num_named_barrier, 0
	.set _ZN2ck27kernel_gemm_xdl_cshuffle_v3INS_28GridwiseGemm_xdl_cshuffle_v3INS_13tensor_layout4gemm8RowMajorENS3_11ColumnMajorES4_DF16bDF16bfDF16bDF16bNS_16tensor_operation12element_wise11PassThroughES8_S8_LNS6_6device18GemmSpecializationE0ELi256ELi128ELi128ELi64ELi8ELi8ELi16ELi16ELi4ELi4ENS_8SequenceIJLi8ELi32ELi1EEEENSB_IJLi1ELi0ELi2EEEESD_Li2ELi8ELi8ELb0ELi0ESC_SD_SD_Li2ELi8ELi8ELb0ELi0ELi1ELi2ENSB_IJLi1ELi32ELi1ELi8EEEELi8ELNS_26BlockGemmPipelineSchedulerE0ELNS_24BlockGemmPipelineVersionE2EDF16bDF16bLb0ELb0ELb0ELi0ELb0EEELb1ELNS_25InMemoryDataOperationEnumE0ELi2ELNS_10TailNumberE10EEEvNT_8ArgumentE.private_seg_size, 0
	.set _ZN2ck27kernel_gemm_xdl_cshuffle_v3INS_28GridwiseGemm_xdl_cshuffle_v3INS_13tensor_layout4gemm8RowMajorENS3_11ColumnMajorES4_DF16bDF16bfDF16bDF16bNS_16tensor_operation12element_wise11PassThroughES8_S8_LNS6_6device18GemmSpecializationE0ELi256ELi128ELi128ELi64ELi8ELi8ELi16ELi16ELi4ELi4ENS_8SequenceIJLi8ELi32ELi1EEEENSB_IJLi1ELi0ELi2EEEESD_Li2ELi8ELi8ELb0ELi0ESC_SD_SD_Li2ELi8ELi8ELb0ELi0ELi1ELi2ENSB_IJLi1ELi32ELi1ELi8EEEELi8ELNS_26BlockGemmPipelineSchedulerE0ELNS_24BlockGemmPipelineVersionE2EDF16bDF16bLb0ELb0ELb0ELi0ELb0EEELb1ELNS_25InMemoryDataOperationEnumE0ELi2ELNS_10TailNumberE10EEEvNT_8ArgumentE.uses_vcc, 1
	.set _ZN2ck27kernel_gemm_xdl_cshuffle_v3INS_28GridwiseGemm_xdl_cshuffle_v3INS_13tensor_layout4gemm8RowMajorENS3_11ColumnMajorES4_DF16bDF16bfDF16bDF16bNS_16tensor_operation12element_wise11PassThroughES8_S8_LNS6_6device18GemmSpecializationE0ELi256ELi128ELi128ELi64ELi8ELi8ELi16ELi16ELi4ELi4ENS_8SequenceIJLi8ELi32ELi1EEEENSB_IJLi1ELi0ELi2EEEESD_Li2ELi8ELi8ELb0ELi0ESC_SD_SD_Li2ELi8ELi8ELb0ELi0ELi1ELi2ENSB_IJLi1ELi32ELi1ELi8EEEELi8ELNS_26BlockGemmPipelineSchedulerE0ELNS_24BlockGemmPipelineVersionE2EDF16bDF16bLb0ELb0ELb0ELi0ELb0EEELb1ELNS_25InMemoryDataOperationEnumE0ELi2ELNS_10TailNumberE10EEEvNT_8ArgumentE.uses_flat_scratch, 0
	.set _ZN2ck27kernel_gemm_xdl_cshuffle_v3INS_28GridwiseGemm_xdl_cshuffle_v3INS_13tensor_layout4gemm8RowMajorENS3_11ColumnMajorES4_DF16bDF16bfDF16bDF16bNS_16tensor_operation12element_wise11PassThroughES8_S8_LNS6_6device18GemmSpecializationE0ELi256ELi128ELi128ELi64ELi8ELi8ELi16ELi16ELi4ELi4ENS_8SequenceIJLi8ELi32ELi1EEEENSB_IJLi1ELi0ELi2EEEESD_Li2ELi8ELi8ELb0ELi0ESC_SD_SD_Li2ELi8ELi8ELb0ELi0ELi1ELi2ENSB_IJLi1ELi32ELi1ELi8EEEELi8ELNS_26BlockGemmPipelineSchedulerE0ELNS_24BlockGemmPipelineVersionE2EDF16bDF16bLb0ELb0ELb0ELi0ELb0EEELb1ELNS_25InMemoryDataOperationEnumE0ELi2ELNS_10TailNumberE10EEEvNT_8ArgumentE.has_dyn_sized_stack, 0
	.set _ZN2ck27kernel_gemm_xdl_cshuffle_v3INS_28GridwiseGemm_xdl_cshuffle_v3INS_13tensor_layout4gemm8RowMajorENS3_11ColumnMajorES4_DF16bDF16bfDF16bDF16bNS_16tensor_operation12element_wise11PassThroughES8_S8_LNS6_6device18GemmSpecializationE0ELi256ELi128ELi128ELi64ELi8ELi8ELi16ELi16ELi4ELi4ENS_8SequenceIJLi8ELi32ELi1EEEENSB_IJLi1ELi0ELi2EEEESD_Li2ELi8ELi8ELb0ELi0ESC_SD_SD_Li2ELi8ELi8ELb0ELi0ELi1ELi2ENSB_IJLi1ELi32ELi1ELi8EEEELi8ELNS_26BlockGemmPipelineSchedulerE0ELNS_24BlockGemmPipelineVersionE2EDF16bDF16bLb0ELb0ELb0ELi0ELb0EEELb1ELNS_25InMemoryDataOperationEnumE0ELi2ELNS_10TailNumberE10EEEvNT_8ArgumentE.has_recursion, 0
	.set _ZN2ck27kernel_gemm_xdl_cshuffle_v3INS_28GridwiseGemm_xdl_cshuffle_v3INS_13tensor_layout4gemm8RowMajorENS3_11ColumnMajorES4_DF16bDF16bfDF16bDF16bNS_16tensor_operation12element_wise11PassThroughES8_S8_LNS6_6device18GemmSpecializationE0ELi256ELi128ELi128ELi64ELi8ELi8ELi16ELi16ELi4ELi4ENS_8SequenceIJLi8ELi32ELi1EEEENSB_IJLi1ELi0ELi2EEEESD_Li2ELi8ELi8ELb0ELi0ESC_SD_SD_Li2ELi8ELi8ELb0ELi0ELi1ELi2ENSB_IJLi1ELi32ELi1ELi8EEEELi8ELNS_26BlockGemmPipelineSchedulerE0ELNS_24BlockGemmPipelineVersionE2EDF16bDF16bLb0ELb0ELb0ELi0ELb0EEELb1ELNS_25InMemoryDataOperationEnumE0ELi2ELNS_10TailNumberE10EEEvNT_8ArgumentE.has_indirect_call, 0
	.section	.AMDGPU.csdata,"",@progbits
; Kernel info:
; codeLenInByte = 4664
; TotalNumSgprs: 36
; NumVgprs: 187
; NumAgprs: 0
; TotalNumVgprs: 187
; ScratchSize: 0
; MemoryBound: 0
; FloatMode: 240
; IeeeMode: 1
; LDSByteSize: 32768 bytes/workgroup (compile time only)
; SGPRBlocks: 12
; VGPRBlocks: 23
; NumSGPRsForWavesPerEU: 102
; NumVGPRsForWavesPerEU: 187
; AccumOffset: 188
; Occupancy: 2
; WaveLimiterHint : 0
; COMPUTE_PGM_RSRC2:SCRATCH_EN: 0
; COMPUTE_PGM_RSRC2:USER_SGPR: 2
; COMPUTE_PGM_RSRC2:TRAP_HANDLER: 0
; COMPUTE_PGM_RSRC2:TGID_X_EN: 1
; COMPUTE_PGM_RSRC2:TGID_Y_EN: 0
; COMPUTE_PGM_RSRC2:TGID_Z_EN: 1
; COMPUTE_PGM_RSRC2:TIDIG_COMP_CNT: 0
; COMPUTE_PGM_RSRC3_GFX90A:ACCUM_OFFSET: 46
; COMPUTE_PGM_RSRC3_GFX90A:TG_SPLIT: 0
	.section	.text._ZN2ck27kernel_gemm_xdl_cshuffle_v3INS_28GridwiseGemm_xdl_cshuffle_v3INS_13tensor_layout4gemm8RowMajorENS3_11ColumnMajorES4_DF16bDF16bfDF16bDF16bNS_16tensor_operation12element_wise11PassThroughES8_S8_LNS6_6device18GemmSpecializationE0ELi256ELi128ELi128ELi64ELi8ELi8ELi16ELi16ELi4ELi2ENS_8SequenceIJLi8ELi32ELi1EEEENSB_IJLi1ELi0ELi2EEEESD_Li2ELi8ELi8ELb0ELi0ESC_SD_SD_Li2ELi8ELi8ELb0ELi0ELi1ELi2ENSB_IJLi1ELi32ELi1ELi8EEEELi8ELNS_26BlockGemmPipelineSchedulerE0ELNS_24BlockGemmPipelineVersionE2EDF16bDF16bLb0ELb0ELb0ELi0ELb0EEELb1ELNS_25InMemoryDataOperationEnumE1ELi2ELNS_10TailNumberE10EEEvNT_8ArgumentE,"axG",@progbits,_ZN2ck27kernel_gemm_xdl_cshuffle_v3INS_28GridwiseGemm_xdl_cshuffle_v3INS_13tensor_layout4gemm8RowMajorENS3_11ColumnMajorES4_DF16bDF16bfDF16bDF16bNS_16tensor_operation12element_wise11PassThroughES8_S8_LNS6_6device18GemmSpecializationE0ELi256ELi128ELi128ELi64ELi8ELi8ELi16ELi16ELi4ELi2ENS_8SequenceIJLi8ELi32ELi1EEEENSB_IJLi1ELi0ELi2EEEESD_Li2ELi8ELi8ELb0ELi0ESC_SD_SD_Li2ELi8ELi8ELb0ELi0ELi1ELi2ENSB_IJLi1ELi32ELi1ELi8EEEELi8ELNS_26BlockGemmPipelineSchedulerE0ELNS_24BlockGemmPipelineVersionE2EDF16bDF16bLb0ELb0ELb0ELi0ELb0EEELb1ELNS_25InMemoryDataOperationEnumE1ELi2ELNS_10TailNumberE10EEEvNT_8ArgumentE,comdat
	.protected	_ZN2ck27kernel_gemm_xdl_cshuffle_v3INS_28GridwiseGemm_xdl_cshuffle_v3INS_13tensor_layout4gemm8RowMajorENS3_11ColumnMajorES4_DF16bDF16bfDF16bDF16bNS_16tensor_operation12element_wise11PassThroughES8_S8_LNS6_6device18GemmSpecializationE0ELi256ELi128ELi128ELi64ELi8ELi8ELi16ELi16ELi4ELi2ENS_8SequenceIJLi8ELi32ELi1EEEENSB_IJLi1ELi0ELi2EEEESD_Li2ELi8ELi8ELb0ELi0ESC_SD_SD_Li2ELi8ELi8ELb0ELi0ELi1ELi2ENSB_IJLi1ELi32ELi1ELi8EEEELi8ELNS_26BlockGemmPipelineSchedulerE0ELNS_24BlockGemmPipelineVersionE2EDF16bDF16bLb0ELb0ELb0ELi0ELb0EEELb1ELNS_25InMemoryDataOperationEnumE1ELi2ELNS_10TailNumberE10EEEvNT_8ArgumentE ; -- Begin function _ZN2ck27kernel_gemm_xdl_cshuffle_v3INS_28GridwiseGemm_xdl_cshuffle_v3INS_13tensor_layout4gemm8RowMajorENS3_11ColumnMajorES4_DF16bDF16bfDF16bDF16bNS_16tensor_operation12element_wise11PassThroughES8_S8_LNS6_6device18GemmSpecializationE0ELi256ELi128ELi128ELi64ELi8ELi8ELi16ELi16ELi4ELi2ENS_8SequenceIJLi8ELi32ELi1EEEENSB_IJLi1ELi0ELi2EEEESD_Li2ELi8ELi8ELb0ELi0ESC_SD_SD_Li2ELi8ELi8ELb0ELi0ELi1ELi2ENSB_IJLi1ELi32ELi1ELi8EEEELi8ELNS_26BlockGemmPipelineSchedulerE0ELNS_24BlockGemmPipelineVersionE2EDF16bDF16bLb0ELb0ELb0ELi0ELb0EEELb1ELNS_25InMemoryDataOperationEnumE1ELi2ELNS_10TailNumberE10EEEvNT_8ArgumentE
	.globl	_ZN2ck27kernel_gemm_xdl_cshuffle_v3INS_28GridwiseGemm_xdl_cshuffle_v3INS_13tensor_layout4gemm8RowMajorENS3_11ColumnMajorES4_DF16bDF16bfDF16bDF16bNS_16tensor_operation12element_wise11PassThroughES8_S8_LNS6_6device18GemmSpecializationE0ELi256ELi128ELi128ELi64ELi8ELi8ELi16ELi16ELi4ELi2ENS_8SequenceIJLi8ELi32ELi1EEEENSB_IJLi1ELi0ELi2EEEESD_Li2ELi8ELi8ELb0ELi0ESC_SD_SD_Li2ELi8ELi8ELb0ELi0ELi1ELi2ENSB_IJLi1ELi32ELi1ELi8EEEELi8ELNS_26BlockGemmPipelineSchedulerE0ELNS_24BlockGemmPipelineVersionE2EDF16bDF16bLb0ELb0ELb0ELi0ELb0EEELb1ELNS_25InMemoryDataOperationEnumE1ELi2ELNS_10TailNumberE10EEEvNT_8ArgumentE
	.p2align	8
	.type	_ZN2ck27kernel_gemm_xdl_cshuffle_v3INS_28GridwiseGemm_xdl_cshuffle_v3INS_13tensor_layout4gemm8RowMajorENS3_11ColumnMajorES4_DF16bDF16bfDF16bDF16bNS_16tensor_operation12element_wise11PassThroughES8_S8_LNS6_6device18GemmSpecializationE0ELi256ELi128ELi128ELi64ELi8ELi8ELi16ELi16ELi4ELi2ENS_8SequenceIJLi8ELi32ELi1EEEENSB_IJLi1ELi0ELi2EEEESD_Li2ELi8ELi8ELb0ELi0ESC_SD_SD_Li2ELi8ELi8ELb0ELi0ELi1ELi2ENSB_IJLi1ELi32ELi1ELi8EEEELi8ELNS_26BlockGemmPipelineSchedulerE0ELNS_24BlockGemmPipelineVersionE2EDF16bDF16bLb0ELb0ELb0ELi0ELb0EEELb1ELNS_25InMemoryDataOperationEnumE1ELi2ELNS_10TailNumberE10EEEvNT_8ArgumentE,@function
_ZN2ck27kernel_gemm_xdl_cshuffle_v3INS_28GridwiseGemm_xdl_cshuffle_v3INS_13tensor_layout4gemm8RowMajorENS3_11ColumnMajorES4_DF16bDF16bfDF16bDF16bNS_16tensor_operation12element_wise11PassThroughES8_S8_LNS6_6device18GemmSpecializationE0ELi256ELi128ELi128ELi64ELi8ELi8ELi16ELi16ELi4ELi2ENS_8SequenceIJLi8ELi32ELi1EEEENSB_IJLi1ELi0ELi2EEEESD_Li2ELi8ELi8ELb0ELi0ESC_SD_SD_Li2ELi8ELi8ELb0ELi0ELi1ELi2ENSB_IJLi1ELi32ELi1ELi8EEEELi8ELNS_26BlockGemmPipelineSchedulerE0ELNS_24BlockGemmPipelineVersionE2EDF16bDF16bLb0ELb0ELb0ELi0ELb0EEELb1ELNS_25InMemoryDataOperationEnumE1ELi2ELNS_10TailNumberE10EEEvNT_8ArgumentE: ; @_ZN2ck27kernel_gemm_xdl_cshuffle_v3INS_28GridwiseGemm_xdl_cshuffle_v3INS_13tensor_layout4gemm8RowMajorENS3_11ColumnMajorES4_DF16bDF16bfDF16bDF16bNS_16tensor_operation12element_wise11PassThroughES8_S8_LNS6_6device18GemmSpecializationE0ELi256ELi128ELi128ELi64ELi8ELi8ELi16ELi16ELi4ELi2ENS_8SequenceIJLi8ELi32ELi1EEEENSB_IJLi1ELi0ELi2EEEESD_Li2ELi8ELi8ELb0ELi0ESC_SD_SD_Li2ELi8ELi8ELb0ELi0ELi1ELi2ENSB_IJLi1ELi32ELi1ELi8EEEELi8ELNS_26BlockGemmPipelineSchedulerE0ELNS_24BlockGemmPipelineVersionE2EDF16bDF16bLb0ELb0ELb0ELi0ELb0EEELb1ELNS_25InMemoryDataOperationEnumE1ELi2ELNS_10TailNumberE10EEEvNT_8ArgumentE
; %bb.0:
	s_endpgm
	.section	.rodata,"a",@progbits
	.p2align	6, 0x0
	.amdhsa_kernel _ZN2ck27kernel_gemm_xdl_cshuffle_v3INS_28GridwiseGemm_xdl_cshuffle_v3INS_13tensor_layout4gemm8RowMajorENS3_11ColumnMajorES4_DF16bDF16bfDF16bDF16bNS_16tensor_operation12element_wise11PassThroughES8_S8_LNS6_6device18GemmSpecializationE0ELi256ELi128ELi128ELi64ELi8ELi8ELi16ELi16ELi4ELi2ENS_8SequenceIJLi8ELi32ELi1EEEENSB_IJLi1ELi0ELi2EEEESD_Li2ELi8ELi8ELb0ELi0ESC_SD_SD_Li2ELi8ELi8ELb0ELi0ELi1ELi2ENSB_IJLi1ELi32ELi1ELi8EEEELi8ELNS_26BlockGemmPipelineSchedulerE0ELNS_24BlockGemmPipelineVersionE2EDF16bDF16bLb0ELb0ELb0ELi0ELb0EEELb1ELNS_25InMemoryDataOperationEnumE1ELi2ELNS_10TailNumberE10EEEvNT_8ArgumentE
		.amdhsa_group_segment_fixed_size 0
		.amdhsa_private_segment_fixed_size 0
		.amdhsa_kernarg_size 112
		.amdhsa_user_sgpr_count 2
		.amdhsa_user_sgpr_dispatch_ptr 0
		.amdhsa_user_sgpr_queue_ptr 0
		.amdhsa_user_sgpr_kernarg_segment_ptr 1
		.amdhsa_user_sgpr_dispatch_id 0
		.amdhsa_user_sgpr_kernarg_preload_length 0
		.amdhsa_user_sgpr_kernarg_preload_offset 0
		.amdhsa_user_sgpr_private_segment_size 0
		.amdhsa_uses_dynamic_stack 0
		.amdhsa_enable_private_segment 0
		.amdhsa_system_sgpr_workgroup_id_x 1
		.amdhsa_system_sgpr_workgroup_id_y 0
		.amdhsa_system_sgpr_workgroup_id_z 0
		.amdhsa_system_sgpr_workgroup_info 0
		.amdhsa_system_vgpr_workitem_id 0
		.amdhsa_next_free_vgpr 1
		.amdhsa_next_free_sgpr 0
		.amdhsa_accum_offset 4
		.amdhsa_reserve_vcc 0
		.amdhsa_float_round_mode_32 0
		.amdhsa_float_round_mode_16_64 0
		.amdhsa_float_denorm_mode_32 3
		.amdhsa_float_denorm_mode_16_64 3
		.amdhsa_dx10_clamp 1
		.amdhsa_ieee_mode 1
		.amdhsa_fp16_overflow 0
		.amdhsa_tg_split 0
		.amdhsa_exception_fp_ieee_invalid_op 0
		.amdhsa_exception_fp_denorm_src 0
		.amdhsa_exception_fp_ieee_div_zero 0
		.amdhsa_exception_fp_ieee_overflow 0
		.amdhsa_exception_fp_ieee_underflow 0
		.amdhsa_exception_fp_ieee_inexact 0
		.amdhsa_exception_int_div_zero 0
	.end_amdhsa_kernel
	.section	.text._ZN2ck27kernel_gemm_xdl_cshuffle_v3INS_28GridwiseGemm_xdl_cshuffle_v3INS_13tensor_layout4gemm8RowMajorENS3_11ColumnMajorES4_DF16bDF16bfDF16bDF16bNS_16tensor_operation12element_wise11PassThroughES8_S8_LNS6_6device18GemmSpecializationE0ELi256ELi128ELi128ELi64ELi8ELi8ELi16ELi16ELi4ELi2ENS_8SequenceIJLi8ELi32ELi1EEEENSB_IJLi1ELi0ELi2EEEESD_Li2ELi8ELi8ELb0ELi0ESC_SD_SD_Li2ELi8ELi8ELb0ELi0ELi1ELi2ENSB_IJLi1ELi32ELi1ELi8EEEELi8ELNS_26BlockGemmPipelineSchedulerE0ELNS_24BlockGemmPipelineVersionE2EDF16bDF16bLb0ELb0ELb0ELi0ELb0EEELb1ELNS_25InMemoryDataOperationEnumE1ELi2ELNS_10TailNumberE10EEEvNT_8ArgumentE,"axG",@progbits,_ZN2ck27kernel_gemm_xdl_cshuffle_v3INS_28GridwiseGemm_xdl_cshuffle_v3INS_13tensor_layout4gemm8RowMajorENS3_11ColumnMajorES4_DF16bDF16bfDF16bDF16bNS_16tensor_operation12element_wise11PassThroughES8_S8_LNS6_6device18GemmSpecializationE0ELi256ELi128ELi128ELi64ELi8ELi8ELi16ELi16ELi4ELi2ENS_8SequenceIJLi8ELi32ELi1EEEENSB_IJLi1ELi0ELi2EEEESD_Li2ELi8ELi8ELb0ELi0ESC_SD_SD_Li2ELi8ELi8ELb0ELi0ELi1ELi2ENSB_IJLi1ELi32ELi1ELi8EEEELi8ELNS_26BlockGemmPipelineSchedulerE0ELNS_24BlockGemmPipelineVersionE2EDF16bDF16bLb0ELb0ELb0ELi0ELb0EEELb1ELNS_25InMemoryDataOperationEnumE1ELi2ELNS_10TailNumberE10EEEvNT_8ArgumentE,comdat
.Lfunc_end3:
	.size	_ZN2ck27kernel_gemm_xdl_cshuffle_v3INS_28GridwiseGemm_xdl_cshuffle_v3INS_13tensor_layout4gemm8RowMajorENS3_11ColumnMajorES4_DF16bDF16bfDF16bDF16bNS_16tensor_operation12element_wise11PassThroughES8_S8_LNS6_6device18GemmSpecializationE0ELi256ELi128ELi128ELi64ELi8ELi8ELi16ELi16ELi4ELi2ENS_8SequenceIJLi8ELi32ELi1EEEENSB_IJLi1ELi0ELi2EEEESD_Li2ELi8ELi8ELb0ELi0ESC_SD_SD_Li2ELi8ELi8ELb0ELi0ELi1ELi2ENSB_IJLi1ELi32ELi1ELi8EEEELi8ELNS_26BlockGemmPipelineSchedulerE0ELNS_24BlockGemmPipelineVersionE2EDF16bDF16bLb0ELb0ELb0ELi0ELb0EEELb1ELNS_25InMemoryDataOperationEnumE1ELi2ELNS_10TailNumberE10EEEvNT_8ArgumentE, .Lfunc_end3-_ZN2ck27kernel_gemm_xdl_cshuffle_v3INS_28GridwiseGemm_xdl_cshuffle_v3INS_13tensor_layout4gemm8RowMajorENS3_11ColumnMajorES4_DF16bDF16bfDF16bDF16bNS_16tensor_operation12element_wise11PassThroughES8_S8_LNS6_6device18GemmSpecializationE0ELi256ELi128ELi128ELi64ELi8ELi8ELi16ELi16ELi4ELi2ENS_8SequenceIJLi8ELi32ELi1EEEENSB_IJLi1ELi0ELi2EEEESD_Li2ELi8ELi8ELb0ELi0ESC_SD_SD_Li2ELi8ELi8ELb0ELi0ELi1ELi2ENSB_IJLi1ELi32ELi1ELi8EEEELi8ELNS_26BlockGemmPipelineSchedulerE0ELNS_24BlockGemmPipelineVersionE2EDF16bDF16bLb0ELb0ELb0ELi0ELb0EEELb1ELNS_25InMemoryDataOperationEnumE1ELi2ELNS_10TailNumberE10EEEvNT_8ArgumentE
                                        ; -- End function
	.set _ZN2ck27kernel_gemm_xdl_cshuffle_v3INS_28GridwiseGemm_xdl_cshuffle_v3INS_13tensor_layout4gemm8RowMajorENS3_11ColumnMajorES4_DF16bDF16bfDF16bDF16bNS_16tensor_operation12element_wise11PassThroughES8_S8_LNS6_6device18GemmSpecializationE0ELi256ELi128ELi128ELi64ELi8ELi8ELi16ELi16ELi4ELi2ENS_8SequenceIJLi8ELi32ELi1EEEENSB_IJLi1ELi0ELi2EEEESD_Li2ELi8ELi8ELb0ELi0ESC_SD_SD_Li2ELi8ELi8ELb0ELi0ELi1ELi2ENSB_IJLi1ELi32ELi1ELi8EEEELi8ELNS_26BlockGemmPipelineSchedulerE0ELNS_24BlockGemmPipelineVersionE2EDF16bDF16bLb0ELb0ELb0ELi0ELb0EEELb1ELNS_25InMemoryDataOperationEnumE1ELi2ELNS_10TailNumberE10EEEvNT_8ArgumentE.num_vgpr, 0
	.set _ZN2ck27kernel_gemm_xdl_cshuffle_v3INS_28GridwiseGemm_xdl_cshuffle_v3INS_13tensor_layout4gemm8RowMajorENS3_11ColumnMajorES4_DF16bDF16bfDF16bDF16bNS_16tensor_operation12element_wise11PassThroughES8_S8_LNS6_6device18GemmSpecializationE0ELi256ELi128ELi128ELi64ELi8ELi8ELi16ELi16ELi4ELi2ENS_8SequenceIJLi8ELi32ELi1EEEENSB_IJLi1ELi0ELi2EEEESD_Li2ELi8ELi8ELb0ELi0ESC_SD_SD_Li2ELi8ELi8ELb0ELi0ELi1ELi2ENSB_IJLi1ELi32ELi1ELi8EEEELi8ELNS_26BlockGemmPipelineSchedulerE0ELNS_24BlockGemmPipelineVersionE2EDF16bDF16bLb0ELb0ELb0ELi0ELb0EEELb1ELNS_25InMemoryDataOperationEnumE1ELi2ELNS_10TailNumberE10EEEvNT_8ArgumentE.num_agpr, 0
	.set _ZN2ck27kernel_gemm_xdl_cshuffle_v3INS_28GridwiseGemm_xdl_cshuffle_v3INS_13tensor_layout4gemm8RowMajorENS3_11ColumnMajorES4_DF16bDF16bfDF16bDF16bNS_16tensor_operation12element_wise11PassThroughES8_S8_LNS6_6device18GemmSpecializationE0ELi256ELi128ELi128ELi64ELi8ELi8ELi16ELi16ELi4ELi2ENS_8SequenceIJLi8ELi32ELi1EEEENSB_IJLi1ELi0ELi2EEEESD_Li2ELi8ELi8ELb0ELi0ESC_SD_SD_Li2ELi8ELi8ELb0ELi0ELi1ELi2ENSB_IJLi1ELi32ELi1ELi8EEEELi8ELNS_26BlockGemmPipelineSchedulerE0ELNS_24BlockGemmPipelineVersionE2EDF16bDF16bLb0ELb0ELb0ELi0ELb0EEELb1ELNS_25InMemoryDataOperationEnumE1ELi2ELNS_10TailNumberE10EEEvNT_8ArgumentE.numbered_sgpr, 0
	.set _ZN2ck27kernel_gemm_xdl_cshuffle_v3INS_28GridwiseGemm_xdl_cshuffle_v3INS_13tensor_layout4gemm8RowMajorENS3_11ColumnMajorES4_DF16bDF16bfDF16bDF16bNS_16tensor_operation12element_wise11PassThroughES8_S8_LNS6_6device18GemmSpecializationE0ELi256ELi128ELi128ELi64ELi8ELi8ELi16ELi16ELi4ELi2ENS_8SequenceIJLi8ELi32ELi1EEEENSB_IJLi1ELi0ELi2EEEESD_Li2ELi8ELi8ELb0ELi0ESC_SD_SD_Li2ELi8ELi8ELb0ELi0ELi1ELi2ENSB_IJLi1ELi32ELi1ELi8EEEELi8ELNS_26BlockGemmPipelineSchedulerE0ELNS_24BlockGemmPipelineVersionE2EDF16bDF16bLb0ELb0ELb0ELi0ELb0EEELb1ELNS_25InMemoryDataOperationEnumE1ELi2ELNS_10TailNumberE10EEEvNT_8ArgumentE.num_named_barrier, 0
	.set _ZN2ck27kernel_gemm_xdl_cshuffle_v3INS_28GridwiseGemm_xdl_cshuffle_v3INS_13tensor_layout4gemm8RowMajorENS3_11ColumnMajorES4_DF16bDF16bfDF16bDF16bNS_16tensor_operation12element_wise11PassThroughES8_S8_LNS6_6device18GemmSpecializationE0ELi256ELi128ELi128ELi64ELi8ELi8ELi16ELi16ELi4ELi2ENS_8SequenceIJLi8ELi32ELi1EEEENSB_IJLi1ELi0ELi2EEEESD_Li2ELi8ELi8ELb0ELi0ESC_SD_SD_Li2ELi8ELi8ELb0ELi0ELi1ELi2ENSB_IJLi1ELi32ELi1ELi8EEEELi8ELNS_26BlockGemmPipelineSchedulerE0ELNS_24BlockGemmPipelineVersionE2EDF16bDF16bLb0ELb0ELb0ELi0ELb0EEELb1ELNS_25InMemoryDataOperationEnumE1ELi2ELNS_10TailNumberE10EEEvNT_8ArgumentE.private_seg_size, 0
	.set _ZN2ck27kernel_gemm_xdl_cshuffle_v3INS_28GridwiseGemm_xdl_cshuffle_v3INS_13tensor_layout4gemm8RowMajorENS3_11ColumnMajorES4_DF16bDF16bfDF16bDF16bNS_16tensor_operation12element_wise11PassThroughES8_S8_LNS6_6device18GemmSpecializationE0ELi256ELi128ELi128ELi64ELi8ELi8ELi16ELi16ELi4ELi2ENS_8SequenceIJLi8ELi32ELi1EEEENSB_IJLi1ELi0ELi2EEEESD_Li2ELi8ELi8ELb0ELi0ESC_SD_SD_Li2ELi8ELi8ELb0ELi0ELi1ELi2ENSB_IJLi1ELi32ELi1ELi8EEEELi8ELNS_26BlockGemmPipelineSchedulerE0ELNS_24BlockGemmPipelineVersionE2EDF16bDF16bLb0ELb0ELb0ELi0ELb0EEELb1ELNS_25InMemoryDataOperationEnumE1ELi2ELNS_10TailNumberE10EEEvNT_8ArgumentE.uses_vcc, 0
	.set _ZN2ck27kernel_gemm_xdl_cshuffle_v3INS_28GridwiseGemm_xdl_cshuffle_v3INS_13tensor_layout4gemm8RowMajorENS3_11ColumnMajorES4_DF16bDF16bfDF16bDF16bNS_16tensor_operation12element_wise11PassThroughES8_S8_LNS6_6device18GemmSpecializationE0ELi256ELi128ELi128ELi64ELi8ELi8ELi16ELi16ELi4ELi2ENS_8SequenceIJLi8ELi32ELi1EEEENSB_IJLi1ELi0ELi2EEEESD_Li2ELi8ELi8ELb0ELi0ESC_SD_SD_Li2ELi8ELi8ELb0ELi0ELi1ELi2ENSB_IJLi1ELi32ELi1ELi8EEEELi8ELNS_26BlockGemmPipelineSchedulerE0ELNS_24BlockGemmPipelineVersionE2EDF16bDF16bLb0ELb0ELb0ELi0ELb0EEELb1ELNS_25InMemoryDataOperationEnumE1ELi2ELNS_10TailNumberE10EEEvNT_8ArgumentE.uses_flat_scratch, 0
	.set _ZN2ck27kernel_gemm_xdl_cshuffle_v3INS_28GridwiseGemm_xdl_cshuffle_v3INS_13tensor_layout4gemm8RowMajorENS3_11ColumnMajorES4_DF16bDF16bfDF16bDF16bNS_16tensor_operation12element_wise11PassThroughES8_S8_LNS6_6device18GemmSpecializationE0ELi256ELi128ELi128ELi64ELi8ELi8ELi16ELi16ELi4ELi2ENS_8SequenceIJLi8ELi32ELi1EEEENSB_IJLi1ELi0ELi2EEEESD_Li2ELi8ELi8ELb0ELi0ESC_SD_SD_Li2ELi8ELi8ELb0ELi0ELi1ELi2ENSB_IJLi1ELi32ELi1ELi8EEEELi8ELNS_26BlockGemmPipelineSchedulerE0ELNS_24BlockGemmPipelineVersionE2EDF16bDF16bLb0ELb0ELb0ELi0ELb0EEELb1ELNS_25InMemoryDataOperationEnumE1ELi2ELNS_10TailNumberE10EEEvNT_8ArgumentE.has_dyn_sized_stack, 0
	.set _ZN2ck27kernel_gemm_xdl_cshuffle_v3INS_28GridwiseGemm_xdl_cshuffle_v3INS_13tensor_layout4gemm8RowMajorENS3_11ColumnMajorES4_DF16bDF16bfDF16bDF16bNS_16tensor_operation12element_wise11PassThroughES8_S8_LNS6_6device18GemmSpecializationE0ELi256ELi128ELi128ELi64ELi8ELi8ELi16ELi16ELi4ELi2ENS_8SequenceIJLi8ELi32ELi1EEEENSB_IJLi1ELi0ELi2EEEESD_Li2ELi8ELi8ELb0ELi0ESC_SD_SD_Li2ELi8ELi8ELb0ELi0ELi1ELi2ENSB_IJLi1ELi32ELi1ELi8EEEELi8ELNS_26BlockGemmPipelineSchedulerE0ELNS_24BlockGemmPipelineVersionE2EDF16bDF16bLb0ELb0ELb0ELi0ELb0EEELb1ELNS_25InMemoryDataOperationEnumE1ELi2ELNS_10TailNumberE10EEEvNT_8ArgumentE.has_recursion, 0
	.set _ZN2ck27kernel_gemm_xdl_cshuffle_v3INS_28GridwiseGemm_xdl_cshuffle_v3INS_13tensor_layout4gemm8RowMajorENS3_11ColumnMajorES4_DF16bDF16bfDF16bDF16bNS_16tensor_operation12element_wise11PassThroughES8_S8_LNS6_6device18GemmSpecializationE0ELi256ELi128ELi128ELi64ELi8ELi8ELi16ELi16ELi4ELi2ENS_8SequenceIJLi8ELi32ELi1EEEENSB_IJLi1ELi0ELi2EEEESD_Li2ELi8ELi8ELb0ELi0ESC_SD_SD_Li2ELi8ELi8ELb0ELi0ELi1ELi2ENSB_IJLi1ELi32ELi1ELi8EEEELi8ELNS_26BlockGemmPipelineSchedulerE0ELNS_24BlockGemmPipelineVersionE2EDF16bDF16bLb0ELb0ELb0ELi0ELb0EEELb1ELNS_25InMemoryDataOperationEnumE1ELi2ELNS_10TailNumberE10EEEvNT_8ArgumentE.has_indirect_call, 0
	.section	.AMDGPU.csdata,"",@progbits
; Kernel info:
; codeLenInByte = 4
; TotalNumSgprs: 6
; NumVgprs: 0
; NumAgprs: 0
; TotalNumVgprs: 0
; ScratchSize: 0
; MemoryBound: 0
; FloatMode: 240
; IeeeMode: 1
; LDSByteSize: 0 bytes/workgroup (compile time only)
; SGPRBlocks: 0
; VGPRBlocks: 0
; NumSGPRsForWavesPerEU: 6
; NumVGPRsForWavesPerEU: 1
; AccumOffset: 4
; Occupancy: 8
; WaveLimiterHint : 0
; COMPUTE_PGM_RSRC2:SCRATCH_EN: 0
; COMPUTE_PGM_RSRC2:USER_SGPR: 2
; COMPUTE_PGM_RSRC2:TRAP_HANDLER: 0
; COMPUTE_PGM_RSRC2:TGID_X_EN: 1
; COMPUTE_PGM_RSRC2:TGID_Y_EN: 0
; COMPUTE_PGM_RSRC2:TGID_Z_EN: 0
; COMPUTE_PGM_RSRC2:TIDIG_COMP_CNT: 0
; COMPUTE_PGM_RSRC3_GFX90A:ACCUM_OFFSET: 0
; COMPUTE_PGM_RSRC3_GFX90A:TG_SPLIT: 0
	.section	.text._ZN2ck27kernel_gemm_xdl_cshuffle_v3INS_28GridwiseGemm_xdl_cshuffle_v3INS_13tensor_layout4gemm8RowMajorENS3_11ColumnMajorES4_DF16bDF16bfDF16bDF16bNS_16tensor_operation12element_wise11PassThroughES8_S8_LNS6_6device18GemmSpecializationE0ELi256ELi128ELi128ELi64ELi8ELi8ELi16ELi16ELi4ELi2ENS_8SequenceIJLi8ELi32ELi1EEEENSB_IJLi1ELi0ELi2EEEESD_Li2ELi8ELi8ELb0ELi0ESC_SD_SD_Li2ELi8ELi8ELb0ELi0ELi1ELi2ENSB_IJLi1ELi32ELi1ELi8EEEELi8ELNS_26BlockGemmPipelineSchedulerE0ELNS_24BlockGemmPipelineVersionE2EDF16bDF16bLb0ELb0ELb0ELi0ELb0EEELb1ELNS_25InMemoryDataOperationEnumE0ELi2ELNS_10TailNumberE10EEEvNT_8ArgumentE,"axG",@progbits,_ZN2ck27kernel_gemm_xdl_cshuffle_v3INS_28GridwiseGemm_xdl_cshuffle_v3INS_13tensor_layout4gemm8RowMajorENS3_11ColumnMajorES4_DF16bDF16bfDF16bDF16bNS_16tensor_operation12element_wise11PassThroughES8_S8_LNS6_6device18GemmSpecializationE0ELi256ELi128ELi128ELi64ELi8ELi8ELi16ELi16ELi4ELi2ENS_8SequenceIJLi8ELi32ELi1EEEENSB_IJLi1ELi0ELi2EEEESD_Li2ELi8ELi8ELb0ELi0ESC_SD_SD_Li2ELi8ELi8ELb0ELi0ELi1ELi2ENSB_IJLi1ELi32ELi1ELi8EEEELi8ELNS_26BlockGemmPipelineSchedulerE0ELNS_24BlockGemmPipelineVersionE2EDF16bDF16bLb0ELb0ELb0ELi0ELb0EEELb1ELNS_25InMemoryDataOperationEnumE0ELi2ELNS_10TailNumberE10EEEvNT_8ArgumentE,comdat
	.protected	_ZN2ck27kernel_gemm_xdl_cshuffle_v3INS_28GridwiseGemm_xdl_cshuffle_v3INS_13tensor_layout4gemm8RowMajorENS3_11ColumnMajorES4_DF16bDF16bfDF16bDF16bNS_16tensor_operation12element_wise11PassThroughES8_S8_LNS6_6device18GemmSpecializationE0ELi256ELi128ELi128ELi64ELi8ELi8ELi16ELi16ELi4ELi2ENS_8SequenceIJLi8ELi32ELi1EEEENSB_IJLi1ELi0ELi2EEEESD_Li2ELi8ELi8ELb0ELi0ESC_SD_SD_Li2ELi8ELi8ELb0ELi0ELi1ELi2ENSB_IJLi1ELi32ELi1ELi8EEEELi8ELNS_26BlockGemmPipelineSchedulerE0ELNS_24BlockGemmPipelineVersionE2EDF16bDF16bLb0ELb0ELb0ELi0ELb0EEELb1ELNS_25InMemoryDataOperationEnumE0ELi2ELNS_10TailNumberE10EEEvNT_8ArgumentE ; -- Begin function _ZN2ck27kernel_gemm_xdl_cshuffle_v3INS_28GridwiseGemm_xdl_cshuffle_v3INS_13tensor_layout4gemm8RowMajorENS3_11ColumnMajorES4_DF16bDF16bfDF16bDF16bNS_16tensor_operation12element_wise11PassThroughES8_S8_LNS6_6device18GemmSpecializationE0ELi256ELi128ELi128ELi64ELi8ELi8ELi16ELi16ELi4ELi2ENS_8SequenceIJLi8ELi32ELi1EEEENSB_IJLi1ELi0ELi2EEEESD_Li2ELi8ELi8ELb0ELi0ESC_SD_SD_Li2ELi8ELi8ELb0ELi0ELi1ELi2ENSB_IJLi1ELi32ELi1ELi8EEEELi8ELNS_26BlockGemmPipelineSchedulerE0ELNS_24BlockGemmPipelineVersionE2EDF16bDF16bLb0ELb0ELb0ELi0ELb0EEELb1ELNS_25InMemoryDataOperationEnumE0ELi2ELNS_10TailNumberE10EEEvNT_8ArgumentE
	.globl	_ZN2ck27kernel_gemm_xdl_cshuffle_v3INS_28GridwiseGemm_xdl_cshuffle_v3INS_13tensor_layout4gemm8RowMajorENS3_11ColumnMajorES4_DF16bDF16bfDF16bDF16bNS_16tensor_operation12element_wise11PassThroughES8_S8_LNS6_6device18GemmSpecializationE0ELi256ELi128ELi128ELi64ELi8ELi8ELi16ELi16ELi4ELi2ENS_8SequenceIJLi8ELi32ELi1EEEENSB_IJLi1ELi0ELi2EEEESD_Li2ELi8ELi8ELb0ELi0ESC_SD_SD_Li2ELi8ELi8ELb0ELi0ELi1ELi2ENSB_IJLi1ELi32ELi1ELi8EEEELi8ELNS_26BlockGemmPipelineSchedulerE0ELNS_24BlockGemmPipelineVersionE2EDF16bDF16bLb0ELb0ELb0ELi0ELb0EEELb1ELNS_25InMemoryDataOperationEnumE0ELi2ELNS_10TailNumberE10EEEvNT_8ArgumentE
	.p2align	8
	.type	_ZN2ck27kernel_gemm_xdl_cshuffle_v3INS_28GridwiseGemm_xdl_cshuffle_v3INS_13tensor_layout4gemm8RowMajorENS3_11ColumnMajorES4_DF16bDF16bfDF16bDF16bNS_16tensor_operation12element_wise11PassThroughES8_S8_LNS6_6device18GemmSpecializationE0ELi256ELi128ELi128ELi64ELi8ELi8ELi16ELi16ELi4ELi2ENS_8SequenceIJLi8ELi32ELi1EEEENSB_IJLi1ELi0ELi2EEEESD_Li2ELi8ELi8ELb0ELi0ESC_SD_SD_Li2ELi8ELi8ELb0ELi0ELi1ELi2ENSB_IJLi1ELi32ELi1ELi8EEEELi8ELNS_26BlockGemmPipelineSchedulerE0ELNS_24BlockGemmPipelineVersionE2EDF16bDF16bLb0ELb0ELb0ELi0ELb0EEELb1ELNS_25InMemoryDataOperationEnumE0ELi2ELNS_10TailNumberE10EEEvNT_8ArgumentE,@function
_ZN2ck27kernel_gemm_xdl_cshuffle_v3INS_28GridwiseGemm_xdl_cshuffle_v3INS_13tensor_layout4gemm8RowMajorENS3_11ColumnMajorES4_DF16bDF16bfDF16bDF16bNS_16tensor_operation12element_wise11PassThroughES8_S8_LNS6_6device18GemmSpecializationE0ELi256ELi128ELi128ELi64ELi8ELi8ELi16ELi16ELi4ELi2ENS_8SequenceIJLi8ELi32ELi1EEEENSB_IJLi1ELi0ELi2EEEESD_Li2ELi8ELi8ELb0ELi0ESC_SD_SD_Li2ELi8ELi8ELb0ELi0ELi1ELi2ENSB_IJLi1ELi32ELi1ELi8EEEELi8ELNS_26BlockGemmPipelineSchedulerE0ELNS_24BlockGemmPipelineVersionE2EDF16bDF16bLb0ELb0ELb0ELi0ELb0EEELb1ELNS_25InMemoryDataOperationEnumE0ELi2ELNS_10TailNumberE10EEEvNT_8ArgumentE: ; @_ZN2ck27kernel_gemm_xdl_cshuffle_v3INS_28GridwiseGemm_xdl_cshuffle_v3INS_13tensor_layout4gemm8RowMajorENS3_11ColumnMajorES4_DF16bDF16bfDF16bDF16bNS_16tensor_operation12element_wise11PassThroughES8_S8_LNS6_6device18GemmSpecializationE0ELi256ELi128ELi128ELi64ELi8ELi8ELi16ELi16ELi4ELi2ENS_8SequenceIJLi8ELi32ELi1EEEENSB_IJLi1ELi0ELi2EEEESD_Li2ELi8ELi8ELb0ELi0ESC_SD_SD_Li2ELi8ELi8ELb0ELi0ELi1ELi2ENSB_IJLi1ELi32ELi1ELi8EEEELi8ELNS_26BlockGemmPipelineSchedulerE0ELNS_24BlockGemmPipelineVersionE2EDF16bDF16bLb0ELb0ELb0ELi0ELb0EEELb1ELNS_25InMemoryDataOperationEnumE0ELi2ELNS_10TailNumberE10EEEvNT_8ArgumentE
; %bb.0:
	s_endpgm
	.section	.rodata,"a",@progbits
	.p2align	6, 0x0
	.amdhsa_kernel _ZN2ck27kernel_gemm_xdl_cshuffle_v3INS_28GridwiseGemm_xdl_cshuffle_v3INS_13tensor_layout4gemm8RowMajorENS3_11ColumnMajorES4_DF16bDF16bfDF16bDF16bNS_16tensor_operation12element_wise11PassThroughES8_S8_LNS6_6device18GemmSpecializationE0ELi256ELi128ELi128ELi64ELi8ELi8ELi16ELi16ELi4ELi2ENS_8SequenceIJLi8ELi32ELi1EEEENSB_IJLi1ELi0ELi2EEEESD_Li2ELi8ELi8ELb0ELi0ESC_SD_SD_Li2ELi8ELi8ELb0ELi0ELi1ELi2ENSB_IJLi1ELi32ELi1ELi8EEEELi8ELNS_26BlockGemmPipelineSchedulerE0ELNS_24BlockGemmPipelineVersionE2EDF16bDF16bLb0ELb0ELb0ELi0ELb0EEELb1ELNS_25InMemoryDataOperationEnumE0ELi2ELNS_10TailNumberE10EEEvNT_8ArgumentE
		.amdhsa_group_segment_fixed_size 0
		.amdhsa_private_segment_fixed_size 0
		.amdhsa_kernarg_size 112
		.amdhsa_user_sgpr_count 2
		.amdhsa_user_sgpr_dispatch_ptr 0
		.amdhsa_user_sgpr_queue_ptr 0
		.amdhsa_user_sgpr_kernarg_segment_ptr 1
		.amdhsa_user_sgpr_dispatch_id 0
		.amdhsa_user_sgpr_kernarg_preload_length 0
		.amdhsa_user_sgpr_kernarg_preload_offset 0
		.amdhsa_user_sgpr_private_segment_size 0
		.amdhsa_uses_dynamic_stack 0
		.amdhsa_enable_private_segment 0
		.amdhsa_system_sgpr_workgroup_id_x 1
		.amdhsa_system_sgpr_workgroup_id_y 0
		.amdhsa_system_sgpr_workgroup_id_z 0
		.amdhsa_system_sgpr_workgroup_info 0
		.amdhsa_system_vgpr_workitem_id 0
		.amdhsa_next_free_vgpr 1
		.amdhsa_next_free_sgpr 0
		.amdhsa_accum_offset 4
		.amdhsa_reserve_vcc 0
		.amdhsa_float_round_mode_32 0
		.amdhsa_float_round_mode_16_64 0
		.amdhsa_float_denorm_mode_32 3
		.amdhsa_float_denorm_mode_16_64 3
		.amdhsa_dx10_clamp 1
		.amdhsa_ieee_mode 1
		.amdhsa_fp16_overflow 0
		.amdhsa_tg_split 0
		.amdhsa_exception_fp_ieee_invalid_op 0
		.amdhsa_exception_fp_denorm_src 0
		.amdhsa_exception_fp_ieee_div_zero 0
		.amdhsa_exception_fp_ieee_overflow 0
		.amdhsa_exception_fp_ieee_underflow 0
		.amdhsa_exception_fp_ieee_inexact 0
		.amdhsa_exception_int_div_zero 0
	.end_amdhsa_kernel
	.section	.text._ZN2ck27kernel_gemm_xdl_cshuffle_v3INS_28GridwiseGemm_xdl_cshuffle_v3INS_13tensor_layout4gemm8RowMajorENS3_11ColumnMajorES4_DF16bDF16bfDF16bDF16bNS_16tensor_operation12element_wise11PassThroughES8_S8_LNS6_6device18GemmSpecializationE0ELi256ELi128ELi128ELi64ELi8ELi8ELi16ELi16ELi4ELi2ENS_8SequenceIJLi8ELi32ELi1EEEENSB_IJLi1ELi0ELi2EEEESD_Li2ELi8ELi8ELb0ELi0ESC_SD_SD_Li2ELi8ELi8ELb0ELi0ELi1ELi2ENSB_IJLi1ELi32ELi1ELi8EEEELi8ELNS_26BlockGemmPipelineSchedulerE0ELNS_24BlockGemmPipelineVersionE2EDF16bDF16bLb0ELb0ELb0ELi0ELb0EEELb1ELNS_25InMemoryDataOperationEnumE0ELi2ELNS_10TailNumberE10EEEvNT_8ArgumentE,"axG",@progbits,_ZN2ck27kernel_gemm_xdl_cshuffle_v3INS_28GridwiseGemm_xdl_cshuffle_v3INS_13tensor_layout4gemm8RowMajorENS3_11ColumnMajorES4_DF16bDF16bfDF16bDF16bNS_16tensor_operation12element_wise11PassThroughES8_S8_LNS6_6device18GemmSpecializationE0ELi256ELi128ELi128ELi64ELi8ELi8ELi16ELi16ELi4ELi2ENS_8SequenceIJLi8ELi32ELi1EEEENSB_IJLi1ELi0ELi2EEEESD_Li2ELi8ELi8ELb0ELi0ESC_SD_SD_Li2ELi8ELi8ELb0ELi0ELi1ELi2ENSB_IJLi1ELi32ELi1ELi8EEEELi8ELNS_26BlockGemmPipelineSchedulerE0ELNS_24BlockGemmPipelineVersionE2EDF16bDF16bLb0ELb0ELb0ELi0ELb0EEELb1ELNS_25InMemoryDataOperationEnumE0ELi2ELNS_10TailNumberE10EEEvNT_8ArgumentE,comdat
.Lfunc_end4:
	.size	_ZN2ck27kernel_gemm_xdl_cshuffle_v3INS_28GridwiseGemm_xdl_cshuffle_v3INS_13tensor_layout4gemm8RowMajorENS3_11ColumnMajorES4_DF16bDF16bfDF16bDF16bNS_16tensor_operation12element_wise11PassThroughES8_S8_LNS6_6device18GemmSpecializationE0ELi256ELi128ELi128ELi64ELi8ELi8ELi16ELi16ELi4ELi2ENS_8SequenceIJLi8ELi32ELi1EEEENSB_IJLi1ELi0ELi2EEEESD_Li2ELi8ELi8ELb0ELi0ESC_SD_SD_Li2ELi8ELi8ELb0ELi0ELi1ELi2ENSB_IJLi1ELi32ELi1ELi8EEEELi8ELNS_26BlockGemmPipelineSchedulerE0ELNS_24BlockGemmPipelineVersionE2EDF16bDF16bLb0ELb0ELb0ELi0ELb0EEELb1ELNS_25InMemoryDataOperationEnumE0ELi2ELNS_10TailNumberE10EEEvNT_8ArgumentE, .Lfunc_end4-_ZN2ck27kernel_gemm_xdl_cshuffle_v3INS_28GridwiseGemm_xdl_cshuffle_v3INS_13tensor_layout4gemm8RowMajorENS3_11ColumnMajorES4_DF16bDF16bfDF16bDF16bNS_16tensor_operation12element_wise11PassThroughES8_S8_LNS6_6device18GemmSpecializationE0ELi256ELi128ELi128ELi64ELi8ELi8ELi16ELi16ELi4ELi2ENS_8SequenceIJLi8ELi32ELi1EEEENSB_IJLi1ELi0ELi2EEEESD_Li2ELi8ELi8ELb0ELi0ESC_SD_SD_Li2ELi8ELi8ELb0ELi0ELi1ELi2ENSB_IJLi1ELi32ELi1ELi8EEEELi8ELNS_26BlockGemmPipelineSchedulerE0ELNS_24BlockGemmPipelineVersionE2EDF16bDF16bLb0ELb0ELb0ELi0ELb0EEELb1ELNS_25InMemoryDataOperationEnumE0ELi2ELNS_10TailNumberE10EEEvNT_8ArgumentE
                                        ; -- End function
	.set _ZN2ck27kernel_gemm_xdl_cshuffle_v3INS_28GridwiseGemm_xdl_cshuffle_v3INS_13tensor_layout4gemm8RowMajorENS3_11ColumnMajorES4_DF16bDF16bfDF16bDF16bNS_16tensor_operation12element_wise11PassThroughES8_S8_LNS6_6device18GemmSpecializationE0ELi256ELi128ELi128ELi64ELi8ELi8ELi16ELi16ELi4ELi2ENS_8SequenceIJLi8ELi32ELi1EEEENSB_IJLi1ELi0ELi2EEEESD_Li2ELi8ELi8ELb0ELi0ESC_SD_SD_Li2ELi8ELi8ELb0ELi0ELi1ELi2ENSB_IJLi1ELi32ELi1ELi8EEEELi8ELNS_26BlockGemmPipelineSchedulerE0ELNS_24BlockGemmPipelineVersionE2EDF16bDF16bLb0ELb0ELb0ELi0ELb0EEELb1ELNS_25InMemoryDataOperationEnumE0ELi2ELNS_10TailNumberE10EEEvNT_8ArgumentE.num_vgpr, 0
	.set _ZN2ck27kernel_gemm_xdl_cshuffle_v3INS_28GridwiseGemm_xdl_cshuffle_v3INS_13tensor_layout4gemm8RowMajorENS3_11ColumnMajorES4_DF16bDF16bfDF16bDF16bNS_16tensor_operation12element_wise11PassThroughES8_S8_LNS6_6device18GemmSpecializationE0ELi256ELi128ELi128ELi64ELi8ELi8ELi16ELi16ELi4ELi2ENS_8SequenceIJLi8ELi32ELi1EEEENSB_IJLi1ELi0ELi2EEEESD_Li2ELi8ELi8ELb0ELi0ESC_SD_SD_Li2ELi8ELi8ELb0ELi0ELi1ELi2ENSB_IJLi1ELi32ELi1ELi8EEEELi8ELNS_26BlockGemmPipelineSchedulerE0ELNS_24BlockGemmPipelineVersionE2EDF16bDF16bLb0ELb0ELb0ELi0ELb0EEELb1ELNS_25InMemoryDataOperationEnumE0ELi2ELNS_10TailNumberE10EEEvNT_8ArgumentE.num_agpr, 0
	.set _ZN2ck27kernel_gemm_xdl_cshuffle_v3INS_28GridwiseGemm_xdl_cshuffle_v3INS_13tensor_layout4gemm8RowMajorENS3_11ColumnMajorES4_DF16bDF16bfDF16bDF16bNS_16tensor_operation12element_wise11PassThroughES8_S8_LNS6_6device18GemmSpecializationE0ELi256ELi128ELi128ELi64ELi8ELi8ELi16ELi16ELi4ELi2ENS_8SequenceIJLi8ELi32ELi1EEEENSB_IJLi1ELi0ELi2EEEESD_Li2ELi8ELi8ELb0ELi0ESC_SD_SD_Li2ELi8ELi8ELb0ELi0ELi1ELi2ENSB_IJLi1ELi32ELi1ELi8EEEELi8ELNS_26BlockGemmPipelineSchedulerE0ELNS_24BlockGemmPipelineVersionE2EDF16bDF16bLb0ELb0ELb0ELi0ELb0EEELb1ELNS_25InMemoryDataOperationEnumE0ELi2ELNS_10TailNumberE10EEEvNT_8ArgumentE.numbered_sgpr, 0
	.set _ZN2ck27kernel_gemm_xdl_cshuffle_v3INS_28GridwiseGemm_xdl_cshuffle_v3INS_13tensor_layout4gemm8RowMajorENS3_11ColumnMajorES4_DF16bDF16bfDF16bDF16bNS_16tensor_operation12element_wise11PassThroughES8_S8_LNS6_6device18GemmSpecializationE0ELi256ELi128ELi128ELi64ELi8ELi8ELi16ELi16ELi4ELi2ENS_8SequenceIJLi8ELi32ELi1EEEENSB_IJLi1ELi0ELi2EEEESD_Li2ELi8ELi8ELb0ELi0ESC_SD_SD_Li2ELi8ELi8ELb0ELi0ELi1ELi2ENSB_IJLi1ELi32ELi1ELi8EEEELi8ELNS_26BlockGemmPipelineSchedulerE0ELNS_24BlockGemmPipelineVersionE2EDF16bDF16bLb0ELb0ELb0ELi0ELb0EEELb1ELNS_25InMemoryDataOperationEnumE0ELi2ELNS_10TailNumberE10EEEvNT_8ArgumentE.num_named_barrier, 0
	.set _ZN2ck27kernel_gemm_xdl_cshuffle_v3INS_28GridwiseGemm_xdl_cshuffle_v3INS_13tensor_layout4gemm8RowMajorENS3_11ColumnMajorES4_DF16bDF16bfDF16bDF16bNS_16tensor_operation12element_wise11PassThroughES8_S8_LNS6_6device18GemmSpecializationE0ELi256ELi128ELi128ELi64ELi8ELi8ELi16ELi16ELi4ELi2ENS_8SequenceIJLi8ELi32ELi1EEEENSB_IJLi1ELi0ELi2EEEESD_Li2ELi8ELi8ELb0ELi0ESC_SD_SD_Li2ELi8ELi8ELb0ELi0ELi1ELi2ENSB_IJLi1ELi32ELi1ELi8EEEELi8ELNS_26BlockGemmPipelineSchedulerE0ELNS_24BlockGemmPipelineVersionE2EDF16bDF16bLb0ELb0ELb0ELi0ELb0EEELb1ELNS_25InMemoryDataOperationEnumE0ELi2ELNS_10TailNumberE10EEEvNT_8ArgumentE.private_seg_size, 0
	.set _ZN2ck27kernel_gemm_xdl_cshuffle_v3INS_28GridwiseGemm_xdl_cshuffle_v3INS_13tensor_layout4gemm8RowMajorENS3_11ColumnMajorES4_DF16bDF16bfDF16bDF16bNS_16tensor_operation12element_wise11PassThroughES8_S8_LNS6_6device18GemmSpecializationE0ELi256ELi128ELi128ELi64ELi8ELi8ELi16ELi16ELi4ELi2ENS_8SequenceIJLi8ELi32ELi1EEEENSB_IJLi1ELi0ELi2EEEESD_Li2ELi8ELi8ELb0ELi0ESC_SD_SD_Li2ELi8ELi8ELb0ELi0ELi1ELi2ENSB_IJLi1ELi32ELi1ELi8EEEELi8ELNS_26BlockGemmPipelineSchedulerE0ELNS_24BlockGemmPipelineVersionE2EDF16bDF16bLb0ELb0ELb0ELi0ELb0EEELb1ELNS_25InMemoryDataOperationEnumE0ELi2ELNS_10TailNumberE10EEEvNT_8ArgumentE.uses_vcc, 0
	.set _ZN2ck27kernel_gemm_xdl_cshuffle_v3INS_28GridwiseGemm_xdl_cshuffle_v3INS_13tensor_layout4gemm8RowMajorENS3_11ColumnMajorES4_DF16bDF16bfDF16bDF16bNS_16tensor_operation12element_wise11PassThroughES8_S8_LNS6_6device18GemmSpecializationE0ELi256ELi128ELi128ELi64ELi8ELi8ELi16ELi16ELi4ELi2ENS_8SequenceIJLi8ELi32ELi1EEEENSB_IJLi1ELi0ELi2EEEESD_Li2ELi8ELi8ELb0ELi0ESC_SD_SD_Li2ELi8ELi8ELb0ELi0ELi1ELi2ENSB_IJLi1ELi32ELi1ELi8EEEELi8ELNS_26BlockGemmPipelineSchedulerE0ELNS_24BlockGemmPipelineVersionE2EDF16bDF16bLb0ELb0ELb0ELi0ELb0EEELb1ELNS_25InMemoryDataOperationEnumE0ELi2ELNS_10TailNumberE10EEEvNT_8ArgumentE.uses_flat_scratch, 0
	.set _ZN2ck27kernel_gemm_xdl_cshuffle_v3INS_28GridwiseGemm_xdl_cshuffle_v3INS_13tensor_layout4gemm8RowMajorENS3_11ColumnMajorES4_DF16bDF16bfDF16bDF16bNS_16tensor_operation12element_wise11PassThroughES8_S8_LNS6_6device18GemmSpecializationE0ELi256ELi128ELi128ELi64ELi8ELi8ELi16ELi16ELi4ELi2ENS_8SequenceIJLi8ELi32ELi1EEEENSB_IJLi1ELi0ELi2EEEESD_Li2ELi8ELi8ELb0ELi0ESC_SD_SD_Li2ELi8ELi8ELb0ELi0ELi1ELi2ENSB_IJLi1ELi32ELi1ELi8EEEELi8ELNS_26BlockGemmPipelineSchedulerE0ELNS_24BlockGemmPipelineVersionE2EDF16bDF16bLb0ELb0ELb0ELi0ELb0EEELb1ELNS_25InMemoryDataOperationEnumE0ELi2ELNS_10TailNumberE10EEEvNT_8ArgumentE.has_dyn_sized_stack, 0
	.set _ZN2ck27kernel_gemm_xdl_cshuffle_v3INS_28GridwiseGemm_xdl_cshuffle_v3INS_13tensor_layout4gemm8RowMajorENS3_11ColumnMajorES4_DF16bDF16bfDF16bDF16bNS_16tensor_operation12element_wise11PassThroughES8_S8_LNS6_6device18GemmSpecializationE0ELi256ELi128ELi128ELi64ELi8ELi8ELi16ELi16ELi4ELi2ENS_8SequenceIJLi8ELi32ELi1EEEENSB_IJLi1ELi0ELi2EEEESD_Li2ELi8ELi8ELb0ELi0ESC_SD_SD_Li2ELi8ELi8ELb0ELi0ELi1ELi2ENSB_IJLi1ELi32ELi1ELi8EEEELi8ELNS_26BlockGemmPipelineSchedulerE0ELNS_24BlockGemmPipelineVersionE2EDF16bDF16bLb0ELb0ELb0ELi0ELb0EEELb1ELNS_25InMemoryDataOperationEnumE0ELi2ELNS_10TailNumberE10EEEvNT_8ArgumentE.has_recursion, 0
	.set _ZN2ck27kernel_gemm_xdl_cshuffle_v3INS_28GridwiseGemm_xdl_cshuffle_v3INS_13tensor_layout4gemm8RowMajorENS3_11ColumnMajorES4_DF16bDF16bfDF16bDF16bNS_16tensor_operation12element_wise11PassThroughES8_S8_LNS6_6device18GemmSpecializationE0ELi256ELi128ELi128ELi64ELi8ELi8ELi16ELi16ELi4ELi2ENS_8SequenceIJLi8ELi32ELi1EEEENSB_IJLi1ELi0ELi2EEEESD_Li2ELi8ELi8ELb0ELi0ESC_SD_SD_Li2ELi8ELi8ELb0ELi0ELi1ELi2ENSB_IJLi1ELi32ELi1ELi8EEEELi8ELNS_26BlockGemmPipelineSchedulerE0ELNS_24BlockGemmPipelineVersionE2EDF16bDF16bLb0ELb0ELb0ELi0ELb0EEELb1ELNS_25InMemoryDataOperationEnumE0ELi2ELNS_10TailNumberE10EEEvNT_8ArgumentE.has_indirect_call, 0
	.section	.AMDGPU.csdata,"",@progbits
; Kernel info:
; codeLenInByte = 4
; TotalNumSgprs: 6
; NumVgprs: 0
; NumAgprs: 0
; TotalNumVgprs: 0
; ScratchSize: 0
; MemoryBound: 0
; FloatMode: 240
; IeeeMode: 1
; LDSByteSize: 0 bytes/workgroup (compile time only)
; SGPRBlocks: 0
; VGPRBlocks: 0
; NumSGPRsForWavesPerEU: 6
; NumVGPRsForWavesPerEU: 1
; AccumOffset: 4
; Occupancy: 8
; WaveLimiterHint : 0
; COMPUTE_PGM_RSRC2:SCRATCH_EN: 0
; COMPUTE_PGM_RSRC2:USER_SGPR: 2
; COMPUTE_PGM_RSRC2:TRAP_HANDLER: 0
; COMPUTE_PGM_RSRC2:TGID_X_EN: 1
; COMPUTE_PGM_RSRC2:TGID_Y_EN: 0
; COMPUTE_PGM_RSRC2:TGID_Z_EN: 0
; COMPUTE_PGM_RSRC2:TIDIG_COMP_CNT: 0
; COMPUTE_PGM_RSRC3_GFX90A:ACCUM_OFFSET: 0
; COMPUTE_PGM_RSRC3_GFX90A:TG_SPLIT: 0
	.section	.AMDGPU.gpr_maximums,"",@progbits
	.set amdgpu.max_num_vgpr, 0
	.set amdgpu.max_num_agpr, 0
	.set amdgpu.max_num_sgpr, 0
	.section	.AMDGPU.csdata,"",@progbits
	.type	__hip_cuid_4fe200835aa60700,@object ; @__hip_cuid_4fe200835aa60700
	.section	.bss,"aw",@nobits
	.globl	__hip_cuid_4fe200835aa60700
__hip_cuid_4fe200835aa60700:
	.byte	0                               ; 0x0
	.size	__hip_cuid_4fe200835aa60700, 1

	.ident	"AMD clang version 22.0.0git (https://github.com/RadeonOpenCompute/llvm-project roc-7.2.4 26084 f58b06dce1f9c15707c5f808fd002e18c2accf7e)"
	.section	".note.GNU-stack","",@progbits
	.addrsig
	.addrsig_sym __hip_cuid_4fe200835aa60700
	.amdgpu_metadata
---
amdhsa.kernels:
  - .agpr_count:     0
    .args:           []
    .group_segment_fixed_size: 0
    .kernarg_segment_align: 4
    .kernarg_segment_size: 0
    .language:       OpenCL C
    .language_version:
      - 2
      - 0
    .max_flat_workgroup_size: 1024
    .name:           _ZN2ckL12flush_icacheEv
    .private_segment_fixed_size: 0
    .sgpr_count:     6
    .sgpr_spill_count: 0
    .symbol:         _ZN2ckL12flush_icacheEv.kd
    .uniform_work_group_size: 1
    .uses_dynamic_stack: false
    .vgpr_count:     0
    .vgpr_spill_count: 0
    .wavefront_size: 64
  - .agpr_count:     0
    .args:
      - .offset:         0
        .size:           112
        .value_kind:     by_value
    .group_segment_fixed_size: 32768
    .kernarg_segment_align: 8
    .kernarg_segment_size: 112
    .language:       OpenCL C
    .language_version:
      - 2
      - 0
    .max_flat_workgroup_size: 256
    .name:           _ZN2ck27kernel_gemm_xdl_cshuffle_v3INS_28GridwiseGemm_xdl_cshuffle_v3INS_13tensor_layout4gemm8RowMajorENS3_11ColumnMajorES4_DF16bDF16bfDF16bDF16bNS_16tensor_operation12element_wise11PassThroughES8_S8_LNS6_6device18GemmSpecializationE0ELi256ELi128ELi128ELi64ELi8ELi8ELi16ELi16ELi4ELi4ENS_8SequenceIJLi8ELi32ELi1EEEENSB_IJLi1ELi0ELi2EEEESD_Li2ELi8ELi8ELb0ELi0ESC_SD_SD_Li2ELi8ELi8ELb0ELi0ELi1ELi2ENSB_IJLi1ELi32ELi1ELi8EEEELi8ELNS_26BlockGemmPipelineSchedulerE0ELNS_24BlockGemmPipelineVersionE2EDF16bDF16bLb0ELb0ELb0ELi0ELb0EEELb1ELNS_25InMemoryDataOperationEnumE1ELi2ELNS_10TailNumberE10EEEvNT_8ArgumentE
    .private_segment_fixed_size: 0
    .sgpr_count:     35
    .sgpr_spill_count: 0
    .symbol:         _ZN2ck27kernel_gemm_xdl_cshuffle_v3INS_28GridwiseGemm_xdl_cshuffle_v3INS_13tensor_layout4gemm8RowMajorENS3_11ColumnMajorES4_DF16bDF16bfDF16bDF16bNS_16tensor_operation12element_wise11PassThroughES8_S8_LNS6_6device18GemmSpecializationE0ELi256ELi128ELi128ELi64ELi8ELi8ELi16ELi16ELi4ELi4ENS_8SequenceIJLi8ELi32ELi1EEEENSB_IJLi1ELi0ELi2EEEESD_Li2ELi8ELi8ELb0ELi0ESC_SD_SD_Li2ELi8ELi8ELb0ELi0ELi1ELi2ENSB_IJLi1ELi32ELi1ELi8EEEELi8ELNS_26BlockGemmPipelineSchedulerE0ELNS_24BlockGemmPipelineVersionE2EDF16bDF16bLb0ELb0ELb0ELi0ELb0EEELb1ELNS_25InMemoryDataOperationEnumE1ELi2ELNS_10TailNumberE10EEEvNT_8ArgumentE.kd
    .uniform_work_group_size: 1
    .uses_dynamic_stack: false
    .vgpr_count:     187
    .vgpr_spill_count: 0
    .wavefront_size: 64
  - .agpr_count:     0
    .args:
      - .offset:         0
        .size:           112
        .value_kind:     by_value
    .group_segment_fixed_size: 32768
    .kernarg_segment_align: 8
    .kernarg_segment_size: 112
    .language:       OpenCL C
    .language_version:
      - 2
      - 0
    .max_flat_workgroup_size: 256
    .name:           _ZN2ck27kernel_gemm_xdl_cshuffle_v3INS_28GridwiseGemm_xdl_cshuffle_v3INS_13tensor_layout4gemm8RowMajorENS3_11ColumnMajorES4_DF16bDF16bfDF16bDF16bNS_16tensor_operation12element_wise11PassThroughES8_S8_LNS6_6device18GemmSpecializationE0ELi256ELi128ELi128ELi64ELi8ELi8ELi16ELi16ELi4ELi4ENS_8SequenceIJLi8ELi32ELi1EEEENSB_IJLi1ELi0ELi2EEEESD_Li2ELi8ELi8ELb0ELi0ESC_SD_SD_Li2ELi8ELi8ELb0ELi0ELi1ELi2ENSB_IJLi1ELi32ELi1ELi8EEEELi8ELNS_26BlockGemmPipelineSchedulerE0ELNS_24BlockGemmPipelineVersionE2EDF16bDF16bLb0ELb0ELb0ELi0ELb0EEELb1ELNS_25InMemoryDataOperationEnumE0ELi2ELNS_10TailNumberE10EEEvNT_8ArgumentE
    .private_segment_fixed_size: 0
    .sgpr_count:     36
    .sgpr_spill_count: 0
    .symbol:         _ZN2ck27kernel_gemm_xdl_cshuffle_v3INS_28GridwiseGemm_xdl_cshuffle_v3INS_13tensor_layout4gemm8RowMajorENS3_11ColumnMajorES4_DF16bDF16bfDF16bDF16bNS_16tensor_operation12element_wise11PassThroughES8_S8_LNS6_6device18GemmSpecializationE0ELi256ELi128ELi128ELi64ELi8ELi8ELi16ELi16ELi4ELi4ENS_8SequenceIJLi8ELi32ELi1EEEENSB_IJLi1ELi0ELi2EEEESD_Li2ELi8ELi8ELb0ELi0ESC_SD_SD_Li2ELi8ELi8ELb0ELi0ELi1ELi2ENSB_IJLi1ELi32ELi1ELi8EEEELi8ELNS_26BlockGemmPipelineSchedulerE0ELNS_24BlockGemmPipelineVersionE2EDF16bDF16bLb0ELb0ELb0ELi0ELb0EEELb1ELNS_25InMemoryDataOperationEnumE0ELi2ELNS_10TailNumberE10EEEvNT_8ArgumentE.kd
    .uniform_work_group_size: 1
    .uses_dynamic_stack: false
    .vgpr_count:     187
    .vgpr_spill_count: 0
    .wavefront_size: 64
  - .agpr_count:     0
    .args:
      - .offset:         0
        .size:           112
        .value_kind:     by_value
    .group_segment_fixed_size: 0
    .kernarg_segment_align: 8
    .kernarg_segment_size: 112
    .language:       OpenCL C
    .language_version:
      - 2
      - 0
    .max_flat_workgroup_size: 256
    .name:           _ZN2ck27kernel_gemm_xdl_cshuffle_v3INS_28GridwiseGemm_xdl_cshuffle_v3INS_13tensor_layout4gemm8RowMajorENS3_11ColumnMajorES4_DF16bDF16bfDF16bDF16bNS_16tensor_operation12element_wise11PassThroughES8_S8_LNS6_6device18GemmSpecializationE0ELi256ELi128ELi128ELi64ELi8ELi8ELi16ELi16ELi4ELi2ENS_8SequenceIJLi8ELi32ELi1EEEENSB_IJLi1ELi0ELi2EEEESD_Li2ELi8ELi8ELb0ELi0ESC_SD_SD_Li2ELi8ELi8ELb0ELi0ELi1ELi2ENSB_IJLi1ELi32ELi1ELi8EEEELi8ELNS_26BlockGemmPipelineSchedulerE0ELNS_24BlockGemmPipelineVersionE2EDF16bDF16bLb0ELb0ELb0ELi0ELb0EEELb1ELNS_25InMemoryDataOperationEnumE1ELi2ELNS_10TailNumberE10EEEvNT_8ArgumentE
    .private_segment_fixed_size: 0
    .sgpr_count:     6
    .sgpr_spill_count: 0
    .symbol:         _ZN2ck27kernel_gemm_xdl_cshuffle_v3INS_28GridwiseGemm_xdl_cshuffle_v3INS_13tensor_layout4gemm8RowMajorENS3_11ColumnMajorES4_DF16bDF16bfDF16bDF16bNS_16tensor_operation12element_wise11PassThroughES8_S8_LNS6_6device18GemmSpecializationE0ELi256ELi128ELi128ELi64ELi8ELi8ELi16ELi16ELi4ELi2ENS_8SequenceIJLi8ELi32ELi1EEEENSB_IJLi1ELi0ELi2EEEESD_Li2ELi8ELi8ELb0ELi0ESC_SD_SD_Li2ELi8ELi8ELb0ELi0ELi1ELi2ENSB_IJLi1ELi32ELi1ELi8EEEELi8ELNS_26BlockGemmPipelineSchedulerE0ELNS_24BlockGemmPipelineVersionE2EDF16bDF16bLb0ELb0ELb0ELi0ELb0EEELb1ELNS_25InMemoryDataOperationEnumE1ELi2ELNS_10TailNumberE10EEEvNT_8ArgumentE.kd
    .uniform_work_group_size: 1
    .uses_dynamic_stack: false
    .vgpr_count:     0
    .vgpr_spill_count: 0
    .wavefront_size: 64
  - .agpr_count:     0
    .args:
      - .offset:         0
        .size:           112
        .value_kind:     by_value
    .group_segment_fixed_size: 0
    .kernarg_segment_align: 8
    .kernarg_segment_size: 112
    .language:       OpenCL C
    .language_version:
      - 2
      - 0
    .max_flat_workgroup_size: 256
    .name:           _ZN2ck27kernel_gemm_xdl_cshuffle_v3INS_28GridwiseGemm_xdl_cshuffle_v3INS_13tensor_layout4gemm8RowMajorENS3_11ColumnMajorES4_DF16bDF16bfDF16bDF16bNS_16tensor_operation12element_wise11PassThroughES8_S8_LNS6_6device18GemmSpecializationE0ELi256ELi128ELi128ELi64ELi8ELi8ELi16ELi16ELi4ELi2ENS_8SequenceIJLi8ELi32ELi1EEEENSB_IJLi1ELi0ELi2EEEESD_Li2ELi8ELi8ELb0ELi0ESC_SD_SD_Li2ELi8ELi8ELb0ELi0ELi1ELi2ENSB_IJLi1ELi32ELi1ELi8EEEELi8ELNS_26BlockGemmPipelineSchedulerE0ELNS_24BlockGemmPipelineVersionE2EDF16bDF16bLb0ELb0ELb0ELi0ELb0EEELb1ELNS_25InMemoryDataOperationEnumE0ELi2ELNS_10TailNumberE10EEEvNT_8ArgumentE
    .private_segment_fixed_size: 0
    .sgpr_count:     6
    .sgpr_spill_count: 0
    .symbol:         _ZN2ck27kernel_gemm_xdl_cshuffle_v3INS_28GridwiseGemm_xdl_cshuffle_v3INS_13tensor_layout4gemm8RowMajorENS3_11ColumnMajorES4_DF16bDF16bfDF16bDF16bNS_16tensor_operation12element_wise11PassThroughES8_S8_LNS6_6device18GemmSpecializationE0ELi256ELi128ELi128ELi64ELi8ELi8ELi16ELi16ELi4ELi2ENS_8SequenceIJLi8ELi32ELi1EEEENSB_IJLi1ELi0ELi2EEEESD_Li2ELi8ELi8ELb0ELi0ESC_SD_SD_Li2ELi8ELi8ELb0ELi0ELi1ELi2ENSB_IJLi1ELi32ELi1ELi8EEEELi8ELNS_26BlockGemmPipelineSchedulerE0ELNS_24BlockGemmPipelineVersionE2EDF16bDF16bLb0ELb0ELb0ELi0ELb0EEELb1ELNS_25InMemoryDataOperationEnumE0ELi2ELNS_10TailNumberE10EEEvNT_8ArgumentE.kd
    .uniform_work_group_size: 1
    .uses_dynamic_stack: false
    .vgpr_count:     0
    .vgpr_spill_count: 0
    .wavefront_size: 64
amdhsa.target:   amdgcn-amd-amdhsa--gfx950
amdhsa.version:
  - 1
  - 2
...

	.end_amdgpu_metadata
